;; amdgpu-corpus repo=ROCm/rocFFT kind=compiled arch=gfx1030 opt=O3
	.text
	.amdgcn_target "amdgcn-amd-amdhsa--gfx1030"
	.amdhsa_code_object_version 6
	.protected	fft_rtc_back_len289_factors_17_17_wgs_119_tpt_17_dp_op_CI_CI_sbcc_twdbase8_3step_dirReg_intrinsicRead ; -- Begin function fft_rtc_back_len289_factors_17_17_wgs_119_tpt_17_dp_op_CI_CI_sbcc_twdbase8_3step_dirReg_intrinsicRead
	.globl	fft_rtc_back_len289_factors_17_17_wgs_119_tpt_17_dp_op_CI_CI_sbcc_twdbase8_3step_dirReg_intrinsicRead
	.p2align	8
	.type	fft_rtc_back_len289_factors_17_17_wgs_119_tpt_17_dp_op_CI_CI_sbcc_twdbase8_3step_dirReg_intrinsicRead,@function
fft_rtc_back_len289_factors_17_17_wgs_119_tpt_17_dp_op_CI_CI_sbcc_twdbase8_3step_dirReg_intrinsicRead: ; @fft_rtc_back_len289_factors_17_17_wgs_119_tpt_17_dp_op_CI_CI_sbcc_twdbase8_3step_dirReg_intrinsicRead
; %bb.0:
	s_clause 0x1
	s_load_dwordx4 s[20:23], s[4:5], 0x18
	s_load_dwordx2 s[24:25], s[4:5], 0x28
	s_mov_b64 s[70:71], s[2:3]
	s_mov_b64 s[68:69], s[0:1]
	v_mov_b32_e32 v249, v0
	s_add_u32 s68, s68, s7
	s_addc_u32 s69, s69, 0
	s_mov_b64 s[28:29], 0
	s_waitcnt lgkmcnt(0)
	s_load_dwordx2 s[30:31], s[20:21], 0x8
	s_waitcnt lgkmcnt(0)
	s_add_u32 s0, s30, -1
	s_addc_u32 s1, s31, -1
	s_add_u32 s2, 0, 0x92481000
	s_addc_u32 s3, 0, 0x64
	s_mul_hi_u32 s8, s2, -7
	s_add_i32 s3, s3, 0x249248c0
	s_sub_i32 s8, s8, s2
	s_mul_i32 s10, s3, -7
	s_mul_i32 s7, s2, -7
	s_add_i32 s8, s8, s10
	s_mul_hi_u32 s9, s2, s7
	s_mul_i32 s12, s2, s8
	s_mul_hi_u32 s10, s2, s8
	s_mul_hi_u32 s11, s3, s7
	s_mul_i32 s7, s3, s7
	s_add_u32 s9, s9, s12
	s_addc_u32 s10, 0, s10
	s_mul_hi_u32 s13, s3, s8
	s_add_u32 s7, s9, s7
	s_mul_i32 s8, s3, s8
	s_addc_u32 s7, s10, s11
	s_addc_u32 s9, s13, 0
	s_add_u32 s7, s7, s8
	v_add_co_u32 v0, s2, s2, s7
	s_addc_u32 s7, 0, s9
	s_cmp_lg_u32 s2, 0
	s_addc_u32 s2, s3, s7
	v_readfirstlane_b32 s3, v0
	s_mul_i32 s8, s0, s2
	s_mul_hi_u32 s7, s0, s2
	s_mul_hi_u32 s9, s1, s2
	s_mul_i32 s2, s1, s2
	s_mul_hi_u32 s10, s0, s3
	s_mul_hi_u32 s11, s1, s3
	s_mul_i32 s3, s1, s3
	s_add_u32 s8, s10, s8
	s_addc_u32 s7, 0, s7
	s_add_u32 s3, s8, s3
	s_addc_u32 s3, s7, s11
	s_addc_u32 s7, s9, 0
	s_add_u32 s2, s3, s2
	s_addc_u32 s3, 0, s7
	s_mul_i32 s8, s2, 7
	s_add_u32 s7, s2, 1
	v_sub_co_u32 v0, s0, s0, s8
	s_mul_hi_u32 s8, s2, 7
	s_addc_u32 s9, s3, 0
	s_mul_i32 s10, s3, 7
	v_sub_co_u32 v1, s11, v0, 7
	s_add_u32 s12, s2, 2
	s_addc_u32 s13, s3, 0
	s_add_i32 s8, s8, s10
	s_cmp_lg_u32 s0, 0
	v_readfirstlane_b32 s0, v1
	s_subb_u32 s1, s1, s8
	s_cmp_lg_u32 s11, 0
	s_subb_u32 s8, s1, 0
	s_cmp_gt_u32 s0, 6
	s_cselect_b32 s0, -1, 0
	s_cmp_eq_u32 s8, 0
	v_readfirstlane_b32 s8, v0
	s_cselect_b32 s0, s0, -1
	s_cmp_lg_u32 s0, 0
	s_cselect_b32 s0, s12, s7
	s_cselect_b32 s9, s13, s9
	s_cmp_gt_u32 s8, 6
	s_cselect_b32 s7, -1, 0
	s_cmp_eq_u32 s1, 0
	s_cselect_b32 s1, s7, -1
	s_mov_b32 s7, 0
	s_cmp_lg_u32 s1, 0
	s_cselect_b32 s0, s0, s2
	s_cselect_b32 s1, s9, s3
	s_add_u32 s34, s0, 1
	s_addc_u32 s35, s1, 0
	v_cmp_lt_u64_e64 s0, s[6:7], s[34:35]
	s_and_b32 vcc_lo, exec_lo, s0
	s_cbranch_vccnz .LBB0_2
; %bb.1:
	v_cvt_f32_u32_e32 v0, s34
	s_sub_i32 s1, 0, s34
	s_mov_b32 s29, s7
	v_rcp_iflag_f32_e32 v0, v0
	v_mul_f32_e32 v0, 0x4f7ffffe, v0
	v_cvt_u32_f32_e32 v0, v0
	v_readfirstlane_b32 s0, v0
	s_mul_i32 s1, s1, s0
	s_mul_hi_u32 s1, s0, s1
	s_add_i32 s0, s0, s1
	s_mul_hi_u32 s0, s6, s0
	s_mul_i32 s1, s0, s34
	s_add_i32 s2, s0, 1
	s_sub_i32 s1, s6, s1
	s_sub_i32 s3, s1, s34
	s_cmp_ge_u32 s1, s34
	s_cselect_b32 s0, s2, s0
	s_cselect_b32 s1, s3, s1
	s_add_i32 s2, s0, 1
	s_cmp_ge_u32 s1, s34
	s_cselect_b32 s28, s2, s0
.LBB0_2:
	s_load_dwordx4 s[16:19], s[22:23], 0x0
	s_load_dwordx4 s[0:3], s[24:25], 0x0
	s_clause 0x1
	s_load_dwordx4 s[12:15], s[4:5], 0x8
	s_load_dwordx2 s[66:67], s[4:5], 0x0
	s_mul_i32 s8, s28, s35
	s_mul_hi_u32 s9, s28, s34
	s_mul_i32 s10, s28, s34
	s_add_i32 s9, s9, s8
	s_sub_u32 s33, s6, s10
	s_subb_u32 s8, 0, s9
	s_waitcnt lgkmcnt(0)
	s_mul_hi_u32 s17, s33, 7
	s_mul_i32 s26, s8, 7
	s_load_dwordx4 s[8:11], s[4:5], 0x60
	s_add_i32 s17, s17, s26
	s_mul_i32 s33, s33, 7
	s_mul_i32 s4, s18, s17
	s_mul_hi_u32 s5, s18, s33
	v_cmp_lt_u64_e64 s37, s[14:15], 3
	s_mul_i32 s26, s2, s17
	s_mul_hi_u32 s27, s2, s33
	s_mul_i32 s19, s19, s33
	s_mul_i32 s36, s3, s33
	s_add_i32 s4, s5, s4
	s_add_i32 s5, s27, s26
	;; [unrolled: 1-line block ×3, first 2 shown]
	s_mul_i32 s19, s18, s33
	s_add_i32 s27, s5, s36
	s_and_b32 vcc_lo, exec_lo, s37
	s_mul_i32 s26, s2, s33
	s_cbranch_vccnz .LBB0_12
; %bb.3:
	s_add_u32 s4, s24, 16
	s_addc_u32 s5, s25, 0
	s_add_u32 s36, s22, 16
	s_addc_u32 s37, s23, 0
	;; [unrolled: 2-line block ×3, first 2 shown]
	s_mov_b64 s[38:39], 2
	s_mov_b32 s40, 0
.LBB0_4:                                ; =>This Inner Loop Header: Depth=1
	s_load_dwordx2 s[42:43], s[20:21], 0x0
	s_waitcnt lgkmcnt(0)
	s_or_b64 s[44:45], s[28:29], s[42:43]
	s_mov_b32 s41, s45
                                        ; implicit-def: $sgpr44_sgpr45
	s_cmp_lg_u64 s[40:41], 0
	s_mov_b32 s41, -1
	s_cbranch_scc0 .LBB0_6
; %bb.5:                                ;   in Loop: Header=BB0_4 Depth=1
	v_cvt_f32_u32_e32 v0, s42
	v_cvt_f32_u32_e32 v1, s43
	s_sub_u32 s45, 0, s42
	s_subb_u32 s47, 0, s43
	v_fmac_f32_e32 v0, 0x4f800000, v1
	v_rcp_f32_e32 v0, v0
	v_mul_f32_e32 v0, 0x5f7ffffc, v0
	v_mul_f32_e32 v1, 0x2f800000, v0
	v_trunc_f32_e32 v1, v1
	v_fmac_f32_e32 v0, 0xcf800000, v1
	v_cvt_u32_f32_e32 v1, v1
	v_cvt_u32_f32_e32 v0, v0
	v_readfirstlane_b32 s41, v1
	v_readfirstlane_b32 s44, v0
	s_mul_i32 s48, s45, s41
	s_mul_hi_u32 s50, s45, s44
	s_mul_i32 s49, s47, s44
	s_add_i32 s48, s50, s48
	s_mul_i32 s51, s45, s44
	s_add_i32 s48, s48, s49
	s_mul_hi_u32 s50, s44, s51
	s_mul_hi_u32 s52, s41, s51
	s_mul_i32 s49, s41, s51
	s_mul_hi_u32 s51, s44, s48
	s_mul_i32 s44, s44, s48
	s_mul_hi_u32 s53, s41, s48
	s_add_u32 s44, s50, s44
	s_addc_u32 s50, 0, s51
	s_add_u32 s44, s44, s49
	s_mul_i32 s48, s41, s48
	s_addc_u32 s44, s50, s52
	s_addc_u32 s49, s53, 0
	s_add_u32 s44, s44, s48
	s_addc_u32 s48, 0, s49
	v_add_co_u32 v0, s44, v0, s44
	s_cmp_lg_u32 s44, 0
	s_addc_u32 s41, s41, s48
	v_readfirstlane_b32 s44, v0
	s_mul_i32 s48, s45, s41
	s_mul_hi_u32 s49, s45, s44
	s_mul_i32 s47, s47, s44
	s_add_i32 s48, s49, s48
	s_mul_i32 s45, s45, s44
	s_add_i32 s48, s48, s47
	s_mul_hi_u32 s49, s41, s45
	s_mul_i32 s50, s41, s45
	s_mul_hi_u32 s45, s44, s45
	s_mul_hi_u32 s51, s44, s48
	s_mul_i32 s44, s44, s48
	s_mul_hi_u32 s47, s41, s48
	s_add_u32 s44, s45, s44
	s_addc_u32 s45, 0, s51
	s_add_u32 s44, s44, s50
	s_mul_i32 s48, s41, s48
	s_addc_u32 s44, s45, s49
	s_addc_u32 s45, s47, 0
	s_add_u32 s44, s44, s48
	s_addc_u32 s45, 0, s45
	v_add_co_u32 v0, s44, v0, s44
	s_cmp_lg_u32 s44, 0
	s_addc_u32 s41, s41, s45
	v_readfirstlane_b32 s44, v0
	s_mul_i32 s47, s28, s41
	s_mul_hi_u32 s45, s28, s41
	s_mul_hi_u32 s48, s29, s41
	s_mul_i32 s41, s29, s41
	s_mul_hi_u32 s49, s28, s44
	s_mul_hi_u32 s50, s29, s44
	s_mul_i32 s44, s29, s44
	s_add_u32 s47, s49, s47
	s_addc_u32 s45, 0, s45
	s_add_u32 s44, s47, s44
	s_addc_u32 s44, s45, s50
	s_addc_u32 s45, s48, 0
	s_add_u32 s44, s44, s41
	s_addc_u32 s45, 0, s45
	s_mul_hi_u32 s41, s42, s44
	s_mul_i32 s48, s42, s45
	s_mul_i32 s49, s42, s44
	s_add_i32 s41, s41, s48
	v_sub_co_u32 v0, s48, s28, s49
	s_mul_i32 s47, s43, s44
	s_add_i32 s41, s41, s47
	v_sub_co_u32 v1, s49, v0, s42
	s_sub_i32 s47, s29, s41
	s_cmp_lg_u32 s48, 0
	s_subb_u32 s47, s47, s43
	s_cmp_lg_u32 s49, 0
	v_readfirstlane_b32 s49, v1
	s_subb_u32 s47, s47, 0
	s_cmp_ge_u32 s47, s43
	s_cselect_b32 s50, -1, 0
	s_cmp_ge_u32 s49, s42
	s_cselect_b32 s49, -1, 0
	s_cmp_eq_u32 s47, s43
	s_cselect_b32 s47, s49, s50
	s_add_u32 s49, s44, 1
	s_addc_u32 s50, s45, 0
	s_add_u32 s51, s44, 2
	s_addc_u32 s52, s45, 0
	s_cmp_lg_u32 s47, 0
	s_cselect_b32 s47, s51, s49
	s_cselect_b32 s49, s52, s50
	s_cmp_lg_u32 s48, 0
	v_readfirstlane_b32 s48, v0
	s_subb_u32 s41, s29, s41
	s_cmp_ge_u32 s41, s43
	s_cselect_b32 s50, -1, 0
	s_cmp_ge_u32 s48, s42
	s_cselect_b32 s48, -1, 0
	s_cmp_eq_u32 s41, s43
	s_cselect_b32 s41, s48, s50
	s_cmp_lg_u32 s41, 0
	s_mov_b32 s41, 0
	s_cselect_b32 s45, s49, s45
	s_cselect_b32 s44, s47, s44
.LBB0_6:                                ;   in Loop: Header=BB0_4 Depth=1
	s_andn2_b32 vcc_lo, exec_lo, s41
	s_cbranch_vccnz .LBB0_8
; %bb.7:                                ;   in Loop: Header=BB0_4 Depth=1
	v_cvt_f32_u32_e32 v0, s42
	s_sub_i32 s44, 0, s42
	v_rcp_iflag_f32_e32 v0, v0
	v_mul_f32_e32 v0, 0x4f7ffffe, v0
	v_cvt_u32_f32_e32 v0, v0
	v_readfirstlane_b32 s41, v0
	s_mul_i32 s44, s44, s41
	s_mul_hi_u32 s44, s41, s44
	s_add_i32 s41, s41, s44
	s_mul_hi_u32 s41, s28, s41
	s_mul_i32 s44, s41, s42
	s_add_i32 s45, s41, 1
	s_sub_i32 s44, s28, s44
	s_sub_i32 s47, s44, s42
	s_cmp_ge_u32 s44, s42
	s_cselect_b32 s41, s45, s41
	s_cselect_b32 s44, s47, s44
	s_add_i32 s45, s41, 1
	s_cmp_ge_u32 s44, s42
	s_cselect_b32 s44, s45, s41
	s_mov_b32 s45, s40
.LBB0_8:                                ;   in Loop: Header=BB0_4 Depth=1
	s_load_dwordx2 s[48:49], s[36:37], 0x0
	s_load_dwordx2 s[50:51], s[4:5], 0x0
	s_mul_i32 s35, s42, s35
	s_mul_hi_u32 s41, s42, s34
	s_mul_i32 s47, s43, s34
	s_mul_i32 s43, s44, s43
	s_mul_hi_u32 s52, s44, s42
	s_mul_i32 s53, s45, s42
	s_add_i32 s35, s41, s35
	s_add_i32 s41, s52, s43
	s_mul_i32 s54, s44, s42
	s_add_i32 s35, s35, s47
	s_add_i32 s41, s41, s53
	s_sub_u32 s28, s28, s54
	s_subb_u32 s29, s29, s41
	s_mul_i32 s34, s42, s34
	s_waitcnt lgkmcnt(0)
	s_mul_i32 s41, s48, s29
	s_mul_hi_u32 s43, s48, s28
	s_mul_i32 s47, s49, s28
	s_add_i32 s41, s43, s41
	s_mul_i32 s48, s48, s28
	s_mul_i32 s29, s50, s29
	s_mul_hi_u32 s43, s50, s28
	s_add_i32 s41, s41, s47
	s_add_u32 s19, s48, s19
	s_addc_u32 s46, s41, s46
	s_add_i32 s29, s43, s29
	s_mul_i32 s41, s51, s28
	s_mul_i32 s28, s50, s28
	s_add_i32 s29, s29, s41
	s_add_u32 s26, s28, s26
	s_addc_u32 s27, s29, s27
	s_add_u32 s38, s38, 1
	s_addc_u32 s39, s39, 0
	s_add_u32 s4, s4, 8
	v_cmp_ge_u64_e64 s28, s[38:39], s[14:15]
	s_addc_u32 s5, s5, 0
	s_add_u32 s36, s36, 8
	s_addc_u32 s37, s37, 0
	s_add_u32 s20, s20, 8
	s_addc_u32 s21, s21, 0
	s_and_b32 vcc_lo, exec_lo, s28
	s_cbranch_vccnz .LBB0_10
; %bb.9:                                ;   in Loop: Header=BB0_4 Depth=1
	s_mov_b64 s[28:29], s[44:45]
	s_branch .LBB0_4
.LBB0_10:
	v_cmp_lt_u64_e64 s4, s[6:7], s[34:35]
	s_mov_b64 s[28:29], 0
	s_and_b32 vcc_lo, exec_lo, s4
	s_cbranch_vccnz .LBB0_12
; %bb.11:
	v_cvt_f32_u32_e32 v0, s34
	s_sub_i32 s5, 0, s34
	v_rcp_iflag_f32_e32 v0, v0
	v_mul_f32_e32 v0, 0x4f7ffffe, v0
	v_cvt_u32_f32_e32 v0, v0
	v_readfirstlane_b32 s4, v0
	s_mul_i32 s5, s5, s4
	s_mul_hi_u32 s5, s4, s5
	s_add_i32 s4, s4, s5
	s_mul_hi_u32 s4, s6, s4
	s_mul_i32 s5, s4, s34
	s_sub_i32 s5, s6, s5
	s_add_i32 s6, s4, 1
	s_sub_i32 s7, s5, s34
	s_cmp_ge_u32 s5, s34
	s_cselect_b32 s4, s6, s4
	s_cselect_b32 s5, s7, s5
	s_add_i32 s6, s4, 1
	s_cmp_ge_u32 s5, s34
	s_cselect_b32 s28, s6, s4
.LBB0_12:
	v_mul_u32_u24_e32 v0, 0x2493, v249
	s_lshl_b64 s[14:15], s[14:15], 3
	s_mov_b32 s7, 0x31014000
	s_add_u32 s4, s22, s14
	s_addc_u32 s5, s23, s15
	v_lshrrev_b32_e32 v182, 16, v0
	s_load_dword s4, s[4:5], 0x0
	s_mov_b32 s6, -2
	s_mov_b32 s50, 0x5d8e7cdc
	s_mov_b32 s56, 0x2a9d6da3
	v_mul_lo_u16 v0, v182, 7
	v_add_nc_u32_e32 v1, 17, v182
	v_add_nc_u32_e32 v6, 34, v182
	;; [unrolled: 1-line block ×4, first 2 shown]
	v_sub_nc_u16 v0, v249, v0
	v_mul_lo_u32 v1, s16, v1
	v_add_nc_u32_e32 v11, 0xaa, v182
	v_mul_lo_u32 v7, s16, v7
	v_mul_lo_u32 v8, s16, v8
	v_and_b32_e32 v250, 0xffff, v0
	v_mul_lo_u32 v0, s16, v182
	v_add_nc_u32_e32 v12, 0xbb, v182
	v_add_nc_u32_e32 v29, 0xdd, v182
	;; [unrolled: 1-line block ×3, first 2 shown]
	v_add_co_u32 v69, s5, s33, v250
	s_waitcnt lgkmcnt(0)
	s_mul_i32 s4, s4, s28
	v_add_co_ci_u32_e64 v70, null, s17, 0, s5
	v_mul_lo_u32 v9, s18, v250
	s_add_i32 s18, s4, s19
	s_add_u32 s4, s33, 7
	s_addc_u32 s5, s17, 0
	v_cmp_gt_u64_e32 vcc_lo, s[30:31], v[69:70]
	v_cmp_le_u64_e64 s5, s[4:5], s[30:31]
	s_mov_b32 s4, s8
	s_lshl_b32 s8, s18, 4
	v_add_lshl_u32 v0, v9, v0, 4
	v_add_lshl_u32 v1, v9, v1, 4
	v_add_lshl_u32 v7, v9, v7, 4
	s_or_b32 vcc_lo, s5, vcc_lo
	s_mov_b32 s5, s9
	v_cndmask_b32_e32 v0, -1, v0, vcc_lo
	v_cndmask_b32_e32 v5, -1, v1, vcc_lo
	s_clause 0x1
	buffer_load_dwordx4 v[1:4], v0, s[4:7], s8 offen
	buffer_load_dwordx4 v[13:16], v5, s[4:7], s8 offen
	v_mul_lo_u32 v0, s16, v6
	v_add_nc_u32_e32 v5, 51, v182
	v_add_lshl_u32 v8, v9, v8, 4
	v_cndmask_b32_e32 v7, -1, v7, vcc_lo
	v_add_nc_u32_e32 v6, 0x77, v182
	v_add_nc_u32_e32 v32, 0x110, v182
	;; [unrolled: 1-line block ×3, first 2 shown]
	v_cndmask_b32_e32 v8, -1, v8, vcc_lo
	v_add_lshl_u32 v0, v9, v0, 4
	v_mul_lo_u32 v6, s16, v6
	s_mov_b32 s58, 0x7c9e640b
	s_mov_b32 s52, 0xeb564b22
	;; [unrolled: 1-line block ×3, first 2 shown]
	v_cndmask_b32_e32 v0, -1, v0, vcc_lo
	s_mov_b32 s36, 0x6c9a05f6
	s_mov_b32 s38, 0x4363dd80
	;; [unrolled: 1-line block ×3, first 2 shown]
	v_add_lshl_u32 v6, v9, v6, 4
	buffer_load_dwordx4 v[17:20], v0, s[4:7], s8 offen
	v_mul_lo_u32 v0, s16, v5
	v_add_nc_u32_e32 v5, 0x44, v182
	s_mov_b32 s51, 0xbfd71e95
	v_cndmask_b32_e32 v6, -1, v6, vcc_lo
	s_mov_b32 s57, 0xbfe58eea
	s_mov_b32 s59, 0xbfeca52d
	;; [unrolled: 1-line block ×4, first 2 shown]
	v_add_lshl_u32 v0, v9, v0, 4
	s_mov_b32 s37, 0xbfe9895b
	s_mov_b32 s39, 0xbfe0d888
	;; [unrolled: 1-line block ×4, first 2 shown]
	v_cndmask_b32_e32 v0, -1, v0, vcc_lo
	s_mov_b32 s22, 0xc61f0d01
	s_mov_b32 s21, 0x3fb79ee6
	;; [unrolled: 1-line block ×4, first 2 shown]
	buffer_load_dwordx4 v[21:24], v0, s[4:7], s8 offen
	v_mul_lo_u32 v0, s16, v5
	v_add_nc_u32_e32 v5, 0x55, v182
	s_mov_b32 s18, 0x6ed5f1bb
	s_mov_b32 s31, 0x3fe7a5f6
	;; [unrolled: 1-line block ×6, first 2 shown]
	v_add_lshl_u32 v0, v9, v0, 4
	s_mov_b32 s63, 0x3fe0d888
	s_mov_b32 s48, s50
	;; [unrolled: 1-line block ×4, first 2 shown]
	v_cndmask_b32_e32 v0, -1, v0, vcc_lo
	s_mov_b32 s62, s38
	s_mov_b32 s47, 0x3fe58eea
	;; [unrolled: 1-line block ×4, first 2 shown]
	buffer_load_dwordx4 v[25:28], v0, s[4:7], s8 offen
	v_mul_lo_u32 v0, s16, v5
	v_add_nc_u32_e32 v5, 0x66, v182
	s_mov_b32 s65, 0x3fc7851a
	s_mov_b32 s46, s56
	;; [unrolled: 1-line block ×4, first 2 shown]
	v_mul_lo_u32 v5, s16, v5
	s_mov_b32 s64, s40
	v_add_lshl_u32 v10, v9, v0, 4
	v_add_nc_u32_e32 v0, 0xcc, v182
	v_cndmask_b32_e32 v10, -1, v10, vcc_lo
	v_add_lshl_u32 v5, v9, v5, 4
	v_mul_lo_u32 v0, s16, v0
	buffer_load_dwordx4 v[78:81], v10, s[4:7], s8 offen
	v_cndmask_b32_e32 v5, -1, v5, vcc_lo
	s_clause 0x2
	buffer_load_dwordx4 v[84:87], v7, s[4:7], s8 offen
	buffer_load_dwordx4 v[88:91], v8, s[4:7], s8 offen
	;; [unrolled: 1-line block ×3, first 2 shown]
	v_mul_lo_u32 v10, s16, v11
	v_mul_lo_u32 v11, s16, v12
	;; [unrolled: 1-line block ×5, first 2 shown]
	v_add_lshl_u32 v0, v9, v0, 4
	v_add_lshl_u32 v10, v9, v10, 4
	;; [unrolled: 1-line block ×3, first 2 shown]
	v_cndmask_b32_e32 v0, -1, v0, vcc_lo
	v_add_lshl_u32 v5, v9, v30, 4
	v_cndmask_b32_e32 v10, -1, v10, vcc_lo
	s_clause 0x1
	buffer_load_dwordx4 v[92:95], v6, s[4:7], s8 offen
	buffer_load_dwordx4 v[183:186], v10, s[4:7], s8 offen
	v_cndmask_b32_e32 v7, -1, v11, vcc_lo
	v_add_lshl_u32 v6, v9, v12, 4
	v_cndmask_b32_e32 v5, -1, v5, vcc_lo
	v_mul_lo_u32 v10, s16, v31
	s_mov_b32 s16, 0x910ea3b9
	buffer_load_dwordx4 v[41:44], v7, s[4:7], s8 offen
	v_cndmask_b32_e32 v11, -1, v6, vcc_lo
	s_clause 0x1
	buffer_load_dwordx4 v[5:8], v5, s[4:7], s8 offen
	buffer_load_dwordx4 v[37:40], v0, s[4:7], s8 offen
	v_add_lshl_u32 v0, v9, v29, 4
	s_mov_b32 s17, 0xbfeb34fa
	v_add_lshl_u32 v9, v9, v10, 4
	buffer_load_dwordx4 v[33:36], v11, s[4:7], s8 offen
	v_cndmask_b32_e32 v0, -1, v0, vcc_lo
	v_cndmask_b32_e32 v9, -1, v9, vcc_lo
	s_clause 0x1
	buffer_load_dwordx4 v[29:32], v0, s[4:7], s8 offen
	buffer_load_dwordx4 v[9:12], v9, s[4:7], s8 offen
	s_mov_b32 s4, 0x370991
	s_mov_b32 s5, 0x3fedd6d0
	;; [unrolled: 1-line block ×6, first 2 shown]
	v_mul_u32_u24_e32 v0, 0x770, v182
	s_waitcnt vmcnt(15)
	v_add_f64 v[47:48], v[3:4], v[15:16]
	v_add_f64 v[45:46], v[1:2], v[13:14]
	s_waitcnt vmcnt(14)
	v_add_f64 v[47:48], v[47:48], v[19:20]
	v_add_f64 v[45:46], v[45:46], v[17:18]
	s_waitcnt vmcnt(13)
	v_add_f64 v[47:48], v[47:48], v[23:24]
	v_add_f64 v[45:46], v[45:46], v[21:22]
	s_waitcnt vmcnt(12)
	v_add_f64 v[47:48], v[47:48], v[27:28]
	v_add_f64 v[45:46], v[45:46], v[25:26]
	s_waitcnt vmcnt(9)
	v_add_f64 v[53:54], v[86:87], v[90:91]
	v_add_f64 v[55:56], v[86:87], -v[90:91]
	v_add_f64 v[47:48], v[47:48], v[80:81]
	v_add_f64 v[49:50], v[45:46], v[78:79]
	;; [unrolled: 1-line block ×3, first 2 shown]
	s_waitcnt vmcnt(6)
	v_add_f64 v[61:62], v[94:95], v[185:186]
	v_add_f64 v[63:64], v[94:95], -v[185:186]
	v_add_f64 v[51:52], v[92:93], -v[183:184]
	s_waitcnt vmcnt(5)
	v_add_f64 v[70:71], v[67:68], v[43:44]
	s_waitcnt vmcnt(4)
	v_add_f64 v[98:99], v[15:16], -v[7:8]
	v_add_f64 v[100:101], v[15:16], v[7:8]
	v_add_f64 v[72:73], v[67:68], -v[43:44]
	v_add_f64 v[136:137], v[13:14], v[5:6]
	;; [unrolled: 2-line block ×3, first 2 shown]
	v_add_f64 v[82:83], v[49:50], v[65:66]
	v_add_f64 v[49:50], v[92:93], v[183:184]
	;; [unrolled: 1-line block ×3, first 2 shown]
	v_add_f64 v[59:60], v[65:66], -v[41:42]
	s_waitcnt vmcnt(3)
	v_add_f64 v[65:66], v[78:79], v[37:38]
	v_add_f64 v[76:77], v[80:81], v[39:40]
	v_add_f64 v[67:68], v[78:79], -v[37:38]
	v_add_f64 v[78:79], v[80:81], -v[39:40]
	s_waitcnt vmcnt(0)
	v_add_f64 v[168:169], v[19:20], v[11:12]
	v_add_f64 v[176:177], v[19:20], -v[11:12]
	v_add_f64 v[110:111], v[17:18], v[9:10]
	v_add_f64 v[112:113], v[17:18], -v[9:10]
	;; [unrolled: 2-line block ×4, first 2 shown]
	v_mul_f64 v[174:175], v[98:99], s[50:51]
	v_mul_f64 v[172:173], v[98:99], s[56:57]
	;; [unrolled: 1-line block ×5, first 2 shown]
	v_add_f64 v[94:95], v[96:97], v[94:95]
	v_add_f64 v[92:93], v[82:83], v[92:93]
	v_mul_f64 v[162:163], v[98:99], s[36:37]
	v_mul_f64 v[160:161], v[98:99], s[38:39]
	;; [unrolled: 1-line block ×6, first 2 shown]
	v_add_f64 v[82:83], v[23:24], v[31:32]
	v_add_f64 v[23:24], v[23:24], -v[31:32]
	v_mul_f64 v[156:157], v[100:101], s[30:31]
	v_mul_f64 v[154:155], v[100:101], s[6:7]
	;; [unrolled: 1-line block ×12, first 2 shown]
	v_add_f64 v[94:95], v[94:95], v[86:87]
	v_add_f64 v[98:99], v[92:93], v[84:85]
	v_fma_f64 v[211:212], v[136:137], s[4:5], v[174:175]
	v_fma_f64 v[174:175], v[136:137], s[4:5], -v[174:175]
	v_fma_f64 v[213:214], v[136:137], s[30:31], v[172:173]
	v_fma_f64 v[172:173], v[136:137], s[30:31], -v[172:173]
	;; [unrolled: 2-line block ×5, first 2 shown]
	v_fma_f64 v[221:222], v[136:137], s[8:9], v[158:159]
	v_fma_f64 v[227:228], v[134:135], s[42:43], v[150:151]
	;; [unrolled: 1-line block ×5, first 2 shown]
	v_mul_f64 v[118:119], v[23:24], s[58:59]
	v_mul_f64 v[120:121], v[82:83], s[6:7]
	;; [unrolled: 1-line block ×5, first 2 shown]
	v_add_f64 v[187:188], v[94:95], v[90:91]
	v_add_f64 v[132:133], v[98:99], v[88:89]
	v_mul_f64 v[203:204], v[176:177], s[60:61]
	v_mul_f64 v[205:206], v[168:169], s[22:23]
	v_fma_f64 v[223:224], v[134:135], s[46:47], v[156:157]
	v_fma_f64 v[156:157], v[134:135], s[56:57], v[156:157]
	;; [unrolled: 1-line block ×8, first 2 shown]
	v_fma_f64 v[189:190], v[110:111], s[20:21], -v[189:190]
	v_fma_f64 v[239:240], v[110:111], s[18:19], v[193:194]
	v_fma_f64 v[245:246], v[112:113], s[64:65], v[197:198]
	;; [unrolled: 1-line block ×4, first 2 shown]
	v_add_f64 v[211:212], v[1:2], v[211:212]
	v_add_f64 v[172:173], v[1:2], v[172:173]
	;; [unrolled: 1-line block ×7, first 2 shown]
	v_mul_f64 v[187:188], v[176:177], s[40:41]
	v_add_f64 v[164:165], v[1:2], v[164:165]
	v_add_f64 v[148:149], v[3:4], v[148:149]
	;; [unrolled: 1-line block ×3, first 2 shown]
	v_add_f64 v[25:26], v[25:26], -v[33:34]
	v_mul_f64 v[138:139], v[23:24], s[64:65]
	v_mul_f64 v[144:145], v[82:83], s[8:9]
	v_fma_f64 v[237:238], v[112:113], s[42:43], v[191:192]
	v_fma_f64 v[191:192], v[112:113], s[52:53], v[191:192]
	;; [unrolled: 1-line block ×3, first 2 shown]
	v_fma_f64 v[193:194], v[110:111], s[18:19], -v[193:194]
	v_fma_f64 v[195:196], v[112:113], s[36:37], v[195:196]
	v_add_f64 v[174:175], v[1:2], v[174:175]
	v_add_f64 v[223:224], v[3:4], v[223:224]
	;; [unrolled: 1-line block ×10, first 2 shown]
	v_fma_f64 v[183:184], v[136:137], s[18:19], v[162:163]
	v_fma_f64 v[162:163], v[136:137], s[18:19], -v[162:163]
	v_fma_f64 v[185:186], v[136:137], s[16:17], v[160:161]
	v_fma_f64 v[160:161], v[136:137], s[16:17], -v[160:161]
	v_fma_f64 v[136:137], v[136:137], s[8:9], -v[158:159]
	v_fma_f64 v[158:159], v[134:135], s[48:49], v[152:153]
	v_fma_f64 v[152:153], v[134:135], s[50:51], v[152:153]
	;; [unrolled: 1-line block ×3, first 2 shown]
	v_fma_f64 v[187:188], v[110:111], s[8:9], -v[187:188]
	v_add_f64 v[229:230], v[3:4], v[229:230]
	v_add_f64 v[231:232], v[3:4], v[231:232]
	;; [unrolled: 1-line block ×6, first 2 shown]
	v_mul_f64 v[239:240], v[82:83], s[22:23]
	v_add_f64 v[150:151], v[197:198], v[150:151]
	v_fma_f64 v[197:198], v[21:22], s[44:45], v[120:121]
	v_fma_f64 v[120:121], v[21:22], s[58:59], v[120:121]
	v_mul_f64 v[108:109], v[80:81], s[20:21]
	v_add_f64 v[39:40], v[43:44], v[39:40]
	v_add_f64 v[37:38], v[41:42], v[37:38]
	v_fma_f64 v[41:42], v[134:135], s[38:39], v[142:143]
	v_fma_f64 v[43:44], v[134:135], s[64:65], v[140:141]
	;; [unrolled: 1-line block ×6, first 2 shown]
	v_add_f64 v[158:159], v[3:4], v[158:159]
	v_add_f64 v[152:153], v[3:4], v[152:153]
	v_fma_f64 v[178:179], v[110:111], s[30:31], -v[178:179]
	v_add_f64 v[162:163], v[1:2], v[162:163]
	v_add_f64 v[166:167], v[187:188], v[166:167]
	v_fma_f64 v[187:188], v[15:16], s[6:7], v[118:119]
	v_mul_f64 v[122:123], v[27:28], s[40:41]
	v_add_f64 v[213:214], v[1:2], v[213:214]
	v_add_f64 v[217:218], v[1:2], v[217:218]
	;; [unrolled: 1-line block ×8, first 2 shown]
	v_fma_f64 v[39:40], v[110:111], s[16:17], -v[199:200]
	v_fma_f64 v[199:200], v[112:113], s[62:63], v[201:202]
	v_add_f64 v[33:34], v[37:38], v[33:34]
	v_fma_f64 v[37:38], v[112:113], s[38:39], v[201:202]
	v_fma_f64 v[201:202], v[110:111], s[22:23], v[203:204]
	v_add_f64 v[41:42], v[3:4], v[41:42]
	v_add_f64 v[43:44], v[3:4], v[43:44]
	;; [unrolled: 1-line block ×3, first 2 shown]
	v_fma_f64 v[3:4], v[110:111], s[22:23], -v[203:204]
	v_fma_f64 v[203:204], v[112:113], s[60:61], v[205:206]
	v_add_f64 v[140:141], v[140:141], v[211:212]
	v_add_f64 v[142:143], v[142:143], v[158:159]
	;; [unrolled: 1-line block ×3, first 2 shown]
	v_fma_f64 v[1:2], v[112:113], s[34:35], v[205:206]
	v_add_f64 v[174:175], v[178:179], v[174:175]
	v_add_f64 v[156:157], v[191:192], v[156:157]
	v_mul_f64 v[191:192], v[23:24], s[60:61]
	v_add_f64 v[225:226], v[241:242], v[225:226]
	v_add_f64 v[170:171], v[193:194], v[170:171]
	v_add_f64 v[154:155], v[195:196], v[154:155]
	v_add_f64 v[227:228], v[245:246], v[227:228]
	v_add_f64 v[219:220], v[247:248], v[219:220]
	v_add_f64 v[39:40], v[39:40], v[164:165]
	v_fma_f64 v[164:165], v[15:16], s[18:19], v[126:127]
	v_add_f64 v[148:149], v[199:200], v[148:149]
	v_mul_f64 v[199:200], v[23:24], s[46:47]
	v_fma_f64 v[126:127], v[15:16], s[18:19], -v[126:127]
	v_fma_f64 v[118:119], v[15:16], s[6:7], -v[118:119]
	v_mul_f64 v[106:107], v[27:28], s[52:53]
	v_mul_f64 v[128:129], v[82:83], s[18:19]
	v_add_f64 v[162:163], v[3:4], v[162:163]
	v_fma_f64 v[3:4], v[15:16], s[8:9], v[138:139]
	v_add_f64 v[146:147], v[203:204], v[146:147]
	v_mul_f64 v[203:204], v[23:24], s[50:51]
	v_add_f64 v[140:141], v[187:188], v[140:141]
	v_fma_f64 v[187:188], v[21:22], s[40:41], v[144:145]
	v_add_f64 v[142:143], v[197:198], v[142:143]
	v_mul_f64 v[197:198], v[82:83], s[4:5]
	v_fma_f64 v[138:139], v[15:16], s[8:9], -v[138:139]
	v_fma_f64 v[144:145], v[21:22], s[64:65], v[144:145]
	v_add_f64 v[120:121], v[120:121], v[152:153]
	v_fma_f64 v[152:153], v[21:22], s[34:35], v[239:240]
	v_mul_f64 v[130:131], v[27:28], s[60:61]
	v_mul_f64 v[193:194], v[80:81], s[4:5]
	v_add_f64 v[217:218], v[243:244], v[217:218]
	v_add_f64 v[183:184], v[201:202], v[183:184]
	;; [unrolled: 1-line block ×3, first 2 shown]
	v_mul_f64 v[96:97], v[76:77], s[22:23]
	v_add_f64 v[126:127], v[126:127], v[172:173]
	v_fma_f64 v[172:173], v[15:16], s[30:31], v[199:200]
	v_add_f64 v[118:119], v[118:119], v[174:175]
	v_fma_f64 v[174:175], v[15:16], s[22:23], v[191:192]
	v_mul_f64 v[124:125], v[80:81], s[8:9]
	v_mul_f64 v[114:115], v[78:79], s[62:63]
	;; [unrolled: 1-line block ×5, first 2 shown]
	v_add_f64 v[187:188], v[187:188], v[225:226]
	v_mul_f64 v[225:226], v[27:28], s[58:59]
	v_mul_f64 v[168:169], v[168:169], s[4:5]
	v_add_f64 v[138:139], v[138:139], v[170:171]
	v_fma_f64 v[170:171], v[15:16], s[4:5], v[203:204]
	v_add_f64 v[144:145], v[144:145], v[154:155]
	v_fma_f64 v[154:155], v[21:22], s[48:49], v[197:198]
	;; [unrolled: 2-line block ×3, first 2 shown]
	v_fma_f64 v[108:109], v[25:26], s[52:53], v[108:109]
	v_add_f64 v[213:214], v[235:236], v[213:214]
	v_mul_f64 v[241:242], v[27:28], s[48:49]
	v_fma_f64 v[201:202], v[21:22], s[54:55], v[128:129]
	v_mul_f64 v[231:232], v[82:83], s[30:31]
	v_add_f64 v[172:173], v[172:173], v[219:220]
	v_fma_f64 v[219:220], v[74:75], s[8:9], v[122:123]
	v_fma_f64 v[122:123], v[74:75], s[8:9], -v[122:123]
	v_fma_f64 v[128:129], v[21:22], s[36:37], v[128:129]
	v_fma_f64 v[191:192], v[15:16], s[22:23], -v[191:192]
	;; [unrolled: 2-line block ×3, first 2 shown]
	v_add_f64 v[174:175], v[174:175], v[217:218]
	v_fma_f64 v[217:218], v[74:75], s[20:21], v[106:107]
	v_fma_f64 v[106:107], v[74:75], s[20:21], -v[106:107]
	v_mul_f64 v[132:133], v[80:81], s[22:23]
	v_mul_f64 v[92:93], v[78:79], s[34:35]
	v_add_f64 v[170:171], v[170:171], v[183:184]
	v_fma_f64 v[183:184], v[74:75], s[22:23], v[130:131]
	v_add_f64 v[1:2], v[154:155], v[1:2]
	v_mul_f64 v[154:155], v[27:28], s[38:39]
	v_fma_f64 v[130:131], v[74:75], s[22:23], -v[130:131]
	v_add_f64 v[108:109], v[108:109], v[120:121]
	v_fma_f64 v[120:121], v[25:26], s[50:51], v[193:194]
	v_fma_f64 v[205:206], v[110:111], s[6:7], v[207:208]
	v_add_f64 v[29:30], v[33:34], v[29:30]
	v_add_f64 v[31:32], v[35:36], v[31:32]
	v_fma_f64 v[33:34], v[112:113], s[58:59], v[209:210]
	v_fma_f64 v[35:36], v[110:111], s[4:5], v[176:177]
	v_add_f64 v[122:123], v[122:123], v[126:127]
	v_fma_f64 v[126:127], v[74:75], s[6:7], v[225:226]
	v_fma_f64 v[176:177], v[110:111], s[4:5], -v[176:177]
	v_fma_f64 v[110:111], v[110:111], s[6:7], -v[207:208]
	v_fma_f64 v[207:208], v[112:113], s[50:51], v[168:169]
	v_fma_f64 v[168:169], v[112:113], s[48:49], v[168:169]
	;; [unrolled: 1-line block ×3, first 2 shown]
	v_mul_f64 v[209:210], v[78:79], s[46:47]
	v_add_f64 v[223:224], v[237:238], v[223:224]
	v_mul_f64 v[195:196], v[78:79], s[58:59]
	v_add_f64 v[37:38], v[37:38], v[229:230]
	v_add_f64 v[164:165], v[164:165], v[213:214]
	;; [unrolled: 1-line block ×3, first 2 shown]
	v_fma_f64 v[156:157], v[21:22], s[56:57], v[231:232]
	v_add_f64 v[3:4], v[3:4], v[215:216]
	v_fma_f64 v[231:232], v[21:22], s[46:47], v[231:232]
	v_add_f64 v[166:167], v[191:192], v[166:167]
	v_mul_f64 v[191:192], v[80:81], s[6:7]
	v_add_f64 v[150:151], v[239:240], v[150:151]
	v_mul_f64 v[239:240], v[78:79], s[40:41]
	v_add_f64 v[39:40], v[199:200], v[39:40]
	v_fma_f64 v[199:200], v[25:26], s[64:65], v[124:125]
	v_fma_f64 v[124:125], v[25:26], s[40:41], v[124:125]
	v_add_f64 v[106:107], v[106:107], v[118:119]
	v_fma_f64 v[118:119], v[74:75], s[4:5], v[241:242]
	v_fma_f64 v[225:226], v[74:75], s[6:7], -v[225:226]
	v_add_f64 v[130:131], v[130:131], v[138:139]
	v_fma_f64 v[138:139], v[74:75], s[16:17], v[154:155]
	v_add_f64 v[120:121], v[120:121], v[152:153]
	v_fma_f64 v[152:153], v[67:68], s[60:61], v[96:97]
	v_fma_f64 v[96:97], v[67:68], s[34:35], v[96:97]
	v_add_f64 v[126:127], v[126:127], v[172:173]
	v_fma_f64 v[172:173], v[65:66], s[16:17], v[114:115]
	v_fma_f64 v[114:115], v[65:66], s[16:17], -v[114:115]
	v_add_f64 v[140:141], v[217:218], v[140:141]
	v_fma_f64 v[217:218], v[25:26], s[34:35], v[132:133]
	v_add_f64 v[142:143], v[227:228], v[142:143]
	v_mul_f64 v[227:228], v[80:81], s[16:17]
	v_fma_f64 v[132:133], v[25:26], s[60:61], v[132:133]
	v_fma_f64 v[241:242], v[74:75], s[4:5], -v[241:242]
	v_add_f64 v[47:48], v[84:85], -v[88:89]
	v_mul_f64 v[84:85], v[72:73], s[36:37]
	v_mul_f64 v[116:117], v[76:77], s[16:17]
	;; [unrolled: 1-line block ×4, first 2 shown]
	v_add_f64 v[201:202], v[201:202], v[223:224]
	v_add_f64 v[37:38], v[156:157], v[37:38]
	v_mul_f64 v[156:157], v[76:77], s[8:9]
	v_add_f64 v[148:149], v[231:232], v[148:149]
	v_add_f64 v[164:165], v[219:220], v[164:165]
	v_fma_f64 v[193:194], v[25:26], s[48:49], v[193:194]
	v_add_f64 v[124:125], v[124:125], v[128:129]
	v_fma_f64 v[128:129], v[25:26], s[44:45], v[191:192]
	;; [unrolled: 2-line block ×4, first 2 shown]
	v_add_f64 v[39:40], v[225:226], v[39:40]
	v_add_f64 v[138:139], v[138:139], v[170:171]
	v_fma_f64 v[170:171], v[65:66], s[30:31], v[209:210]
	v_add_f64 v[96:97], v[96:97], v[108:109]
	v_fma_f64 v[108:109], v[65:66], s[6:7], v[195:196]
	;; [unrolled: 2-line block ×3, first 2 shown]
	v_fma_f64 v[239:240], v[65:66], s[8:9], -v[239:240]
	v_mul_f64 v[86:87], v[70:71], s[18:19]
	v_mul_f64 v[211:212], v[76:77], s[30:31]
	v_add_f64 v[132:133], v[132:133], v[144:145]
	v_fma_f64 v[144:145], v[25:26], s[62:63], v[227:228]
	v_add_f64 v[166:167], v[241:242], v[166:167]
	v_fma_f64 v[195:196], v[65:66], s[6:7], -v[195:196]
	v_mul_f64 v[102:103], v[70:71], s[22:23]
	v_mul_f64 v[158:159], v[72:73], s[50:51]
	;; [unrolled: 1-line block ×3, first 2 shown]
	v_add_f64 v[199:200], v[199:200], v[201:202]
	v_add_f64 v[150:151], v[193:194], v[150:151]
	v_mul_f64 v[193:194], v[78:79], s[42:43]
	v_fma_f64 v[92:93], v[65:66], s[22:23], -v[92:93]
	v_add_f64 v[37:38], v[128:129], v[37:38]
	v_fma_f64 v[128:129], v[67:68], s[38:39], v[116:117]
	v_mul_f64 v[225:226], v[76:77], s[20:21]
	v_add_f64 v[148:149], v[191:192], v[148:149]
	v_fma_f64 v[116:117], v[67:68], s[62:63], v[116:117]
	v_add_f64 v[140:141], v[174:175], v[140:141]
	v_fma_f64 v[209:210], v[65:66], s[30:31], -v[209:210]
	v_add_f64 v[164:165], v[172:173], v[164:165]
	v_fma_f64 v[172:173], v[67:68], s[44:45], v[243:244]
	v_add_f64 v[3:4], v[170:171], v[3:4]
	v_fma_f64 v[170:171], v[67:68], s[64:65], v[156:157]
	v_fma_f64 v[156:157], v[67:68], s[40:41], v[156:157]
	v_add_f64 v[108:109], v[108:109], v[118:119]
	v_fma_f64 v[118:119], v[57:58], s[18:19], v[84:85]
	v_add_f64 v[39:40], v[239:240], v[39:40]
	v_fma_f64 v[239:240], v[57:58], s[22:23], v[104:105]
	v_mul_f64 v[178:179], v[70:71], s[4:5]
	v_add_f64 v[187:188], v[217:218], v[187:188]
	v_add_f64 v[1:2], v[144:145], v[1:2]
	v_fma_f64 v[144:145], v[67:68], s[56:57], v[211:212]
	v_add_f64 v[142:143], v[152:153], v[142:143]
	v_add_f64 v[166:167], v[195:196], v[166:167]
	v_fma_f64 v[195:196], v[59:60], s[54:55], v[86:87]
	v_mul_f64 v[13:14], v[63:64], s[38:39]
	v_mul_f64 v[90:91], v[63:64], s[44:45]
	;; [unrolled: 1-line block ×6, first 2 shown]
	v_fma_f64 v[211:212], v[67:68], s[46:47], v[211:212]
	v_add_f64 v[92:93], v[92:93], v[106:107]
	v_add_f64 v[128:129], v[128:129], v[199:200]
	v_fma_f64 v[243:244], v[67:68], s[58:59], v[243:244]
	v_add_f64 v[116:117], v[116:117], v[124:125]
	v_add_f64 v[130:131], v[209:210], v[130:131]
	v_fma_f64 v[209:210], v[65:66], s[20:21], v[193:194]
	v_add_f64 v[120:121], v[172:173], v[120:121]
	v_fma_f64 v[172:173], v[67:68], s[52:53], v[225:226]
	v_fma_f64 v[84:85], v[57:58], s[18:19], -v[84:85]
	v_add_f64 v[148:149], v[156:157], v[148:149]
	v_fma_f64 v[156:157], v[59:60], s[34:35], v[102:103]
	v_fma_f64 v[104:105], v[57:58], s[22:23], -v[104:105]
	v_fma_f64 v[102:103], v[59:60], s[60:61], v[102:103]
	v_add_f64 v[118:119], v[118:119], v[140:141]
	v_fma_f64 v[140:141], v[57:58], s[4:5], v[158:159]
	v_add_f64 v[164:165], v[239:240], v[164:165]
	v_fma_f64 v[239:240], v[57:58], s[16:17], v[245:246]
	v_mul_f64 v[180:181], v[63:64], s[52:53]
	v_add_f64 v[144:145], v[144:145], v[187:188]
	v_add_f64 v[142:143], v[195:196], v[142:143]
	v_fma_f64 v[195:196], v[59:60], s[48:49], v[178:179]
	v_mul_f64 v[17:18], v[61:62], s[16:17]
	v_mul_f64 v[19:20], v[55:56], s[40:41]
	v_mul_f64 v[98:99], v[55:56], s[48:49]
	v_mul_f64 v[100:101], v[53:54], s[4:5]
	v_mul_f64 v[235:236], v[61:62], s[20:21]
	v_mul_f64 v[247:248], v[70:71], s[16:17]
	v_mul_f64 v[229:230], v[63:64], s[54:55]
	v_mul_f64 v[201:202], v[63:64], s[50:51]
	v_mul_f64 v[183:184], v[61:62], s[4:5]
	v_add_f64 v[132:133], v[211:212], v[132:133]
	v_add_f64 v[150:151], v[243:244], v[150:151]
	v_fma_f64 v[243:244], v[49:50], s[16:17], v[13:14]
	v_add_f64 v[37:38], v[170:171], v[37:38]
	v_fma_f64 v[86:87], v[59:60], s[36:37], v[86:87]
	v_add_f64 v[138:139], v[209:210], v[138:139]
	v_fma_f64 v[13:14], v[49:50], s[16:17], -v[13:14]
	v_add_f64 v[1:2], v[172:173], v[1:2]
	v_fma_f64 v[172:173], v[49:50], s[6:7], v[90:91]
	v_add_f64 v[84:85], v[84:85], v[92:93]
	v_fma_f64 v[92:93], v[51:52], s[58:59], v[94:95]
	v_fma_f64 v[158:159], v[57:58], s[4:5], -v[158:159]
	v_fma_f64 v[178:179], v[59:60], s[50:51], v[178:179]
	v_add_f64 v[128:129], v[156:157], v[128:129]
	v_add_f64 v[104:105], v[104:105], v[114:115]
	v_fma_f64 v[90:91], v[49:50], s[6:7], -v[90:91]
	v_fma_f64 v[245:246], v[57:58], s[16:17], -v[245:246]
	v_add_f64 v[102:103], v[102:103], v[116:117]
	v_fma_f64 v[116:117], v[57:58], s[20:21], v[231:232]
	v_add_f64 v[3:4], v[140:141], v[3:4]
	v_fma_f64 v[140:141], v[59:60], s[52:53], v[219:220]
	v_fma_f64 v[231:232], v[57:58], s[20:21], -v[231:232]
	v_add_f64 v[108:109], v[239:240], v[108:109]
	v_fma_f64 v[239:240], v[57:58], s[30:31], v[191:192]
	v_mul_f64 v[237:238], v[55:56], s[38:39]
	v_add_f64 v[144:145], v[195:196], v[144:145]
	v_fma_f64 v[195:196], v[49:50], s[20:21], v[180:181]
	v_mul_f64 v[174:175], v[70:71], s[30:31]
	v_fma_f64 v[219:220], v[59:60], s[42:43], v[219:220]
	v_mul_f64 v[88:89], v[53:54], s[8:9]
	v_mul_f64 v[189:190], v[53:54], s[16:17]
	;; [unrolled: 1-line block ×4, first 2 shown]
	v_add_f64 v[122:123], v[122:123], v[126:127]
	v_fma_f64 v[126:127], v[51:52], s[62:63], v[17:18]
	v_fma_f64 v[170:171], v[45:46], s[8:9], v[19:20]
	;; [unrolled: 1-line block ×3, first 2 shown]
	v_fma_f64 v[19:20], v[45:46], s[8:9], -v[19:20]
	v_add_f64 v[86:87], v[86:87], v[96:97]
	v_fma_f64 v[96:97], v[45:46], s[4:5], v[98:99]
	v_fma_f64 v[156:157], v[59:60], s[62:63], v[247:248]
	;; [unrolled: 1-line block ×4, first 2 shown]
	v_fma_f64 v[98:99], v[45:46], s[4:5], -v[98:99]
	v_add_f64 v[130:131], v[158:159], v[130:131]
	v_fma_f64 v[158:159], v[51:52], s[42:43], v[235:236]
	v_add_f64 v[132:133], v[178:179], v[132:133]
	v_fma_f64 v[180:181], v[49:50], s[20:21], -v[180:181]
	v_fma_f64 v[235:236], v[51:52], s[52:53], v[235:236]
	v_add_f64 v[166:167], v[245:246], v[166:167]
	v_fma_f64 v[245:246], v[49:50], s[18:19], v[229:230]
	v_add_f64 v[37:38], v[140:141], v[37:38]
	v_fma_f64 v[229:230], v[49:50], s[18:19], -v[229:230]
	v_add_f64 v[39:40], v[231:232], v[39:40]
	v_fma_f64 v[231:232], v[49:50], s[4:5], v[201:202]
	v_add_f64 v[138:139], v[239:240], v[138:139]
	v_fma_f64 v[239:240], v[51:52], s[48:49], v[183:184]
	v_fma_f64 v[201:202], v[49:50], s[4:5], -v[201:202]
	v_add_f64 v[13:14], v[13:14], v[84:85]
	v_add_f64 v[164:165], v[172:173], v[164:165]
	;; [unrolled: 1-line block ×5, first 2 shown]
	v_mul_f64 v[23:24], v[23:24], s[38:39]
	v_mul_f64 v[82:83], v[82:83], s[16:17]
	v_fma_f64 v[178:179], v[45:46], s[16:17], v[237:238]
	v_add_f64 v[104:105], v[195:196], v[3:4]
	v_add_f64 v[148:149], v[219:220], v[148:149]
	v_fma_f64 v[219:220], v[59:60], s[46:47], v[174:175]
	v_add_f64 v[118:119], v[243:244], v[118:119]
	v_fma_f64 v[209:210], v[47:48], s[64:65], v[88:89]
	;; [unrolled: 2-line block ×3, first 2 shown]
	v_add_f64 v[126:127], v[126:127], v[142:143]
	v_fma_f64 v[203:204], v[15:16], s[4:5], -v[203:204]
	v_add_f64 v[128:129], v[158:159], v[144:145]
	v_add_f64 v[144:145], v[29:30], v[9:10]
	;; [unrolled: 1-line block ×14, first 2 shown]
	v_fma_f64 v[11:12], v[21:22], s[50:51], v[197:198]
	v_add_f64 v[37:38], v[205:206], v[185:186]
	v_add_f64 v[33:34], v[33:34], v[233:234]
	v_fma_f64 v[39:40], v[15:16], s[20:21], v[187:188]
	v_fma_f64 v[90:91], v[21:22], s[42:43], v[211:212]
	v_mul_f64 v[92:93], v[27:28], s[54:55]
	v_mul_f64 v[96:97], v[80:81], s[18:19]
	v_add_f64 v[29:30], v[178:179], v[104:105]
	v_add_f64 v[35:36], v[35:36], v[221:222]
	;; [unrolled: 1-line block ×3, first 2 shown]
	v_fma_f64 v[98:99], v[15:16], s[16:17], v[23:24]
	v_fma_f64 v[104:105], v[21:22], s[62:63], v[82:83]
	v_mul_f64 v[27:28], v[27:28], s[46:47]
	v_mul_f64 v[80:81], v[80:81], s[30:31]
	v_add_f64 v[158:159], v[219:220], v[1:2]
	v_add_f64 v[1:2], v[170:171], v[118:119]
	;; [unrolled: 1-line block ×4, first 2 shown]
	v_fma_f64 v[23:24], v[15:16], s[16:17], -v[23:24]
	v_fma_f64 v[82:83], v[21:22], s[38:39], v[82:83]
	v_add_f64 v[110:111], v[110:111], v[160:161]
	v_add_f64 v[41:42], v[112:113], v[41:42]
	v_fma_f64 v[15:16], v[15:16], s[20:21], -v[187:188]
	v_fma_f64 v[21:22], v[21:22], s[52:53], v[211:212]
	v_add_f64 v[3:4], v[209:210], v[126:127]
	v_add_f64 v[31:32], v[156:157], v[128:129]
	;; [unrolled: 1-line block ×4, first 2 shown]
	v_fma_f64 v[126:127], v[74:75], s[16:17], -v[154:155]
	v_fma_f64 v[128:129], v[25:26], s[38:39], v[227:228]
	v_add_f64 v[37:38], v[39:40], v[37:38]
	v_add_f64 v[33:34], v[90:91], v[33:34]
	v_fma_f64 v[39:40], v[74:75], s[18:19], v[92:93]
	v_fma_f64 v[90:91], v[25:26], s[36:37], v[96:97]
	v_mul_f64 v[134:135], v[78:79], s[50:51]
	v_mul_f64 v[136:137], v[76:77], s[4:5]
	v_add_f64 v[35:36], v[98:99], v[35:36]
	v_add_f64 v[43:44], v[104:105], v[43:44]
	v_fma_f64 v[98:99], v[74:75], s[30:31], v[27:28]
	v_fma_f64 v[104:105], v[25:26], s[56:57], v[80:81]
	v_mul_f64 v[78:79], v[78:79], s[36:37]
	v_mul_f64 v[76:77], v[76:77], s[18:19]
	v_add_f64 v[23:24], v[23:24], v[114:115]
	v_add_f64 v[82:83], v[82:83], v[118:119]
	v_fma_f64 v[27:28], v[74:75], s[30:31], -v[27:28]
	v_fma_f64 v[80:81], v[25:26], s[46:47], v[80:81]
	v_add_f64 v[15:16], v[15:16], v[110:111]
	v_add_f64 v[21:22], v[21:22], v[41:42]
	v_fma_f64 v[41:42], v[74:75], s[18:19], -v[92:93]
	v_fma_f64 v[25:26], v[25:26], s[54:55], v[96:97]
	;; [unrolled: 4-line block ×3, first 2 shown]
	v_add_f64 v[37:38], v[39:40], v[37:38]
	v_add_f64 v[33:34], v[90:91], v[33:34]
	v_fma_f64 v[39:40], v[65:66], s[4:5], v[134:135]
	v_fma_f64 v[90:91], v[67:68], s[48:49], v[136:137]
	v_mul_f64 v[110:111], v[72:73], s[40:41]
	v_mul_f64 v[112:113], v[70:71], s[8:9]
	v_add_f64 v[35:36], v[98:99], v[35:36]
	v_add_f64 v[43:44], v[104:105], v[43:44]
	v_fma_f64 v[98:99], v[65:66], s[18:19], v[78:79]
	v_fma_f64 v[104:105], v[67:68], s[54:55], v[76:77]
	v_mul_f64 v[72:73], v[72:73], s[44:45]
	v_mul_f64 v[70:71], v[70:71], s[6:7]
	v_add_f64 v[23:24], v[27:28], v[23:24]
	v_add_f64 v[27:28], v[80:81], v[82:83]
	v_fma_f64 v[78:79], v[65:66], s[18:19], -v[78:79]
	v_fma_f64 v[76:77], v[67:68], s[36:37], v[76:77]
	v_add_f64 v[15:16], v[41:42], v[15:16]
	v_add_f64 v[21:22], v[25:26], v[21:22]
	v_fma_f64 v[25:26], v[65:66], s[4:5], -v[134:135]
	v_fma_f64 v[41:42], v[67:68], s[50:51], v[136:137]
	v_mul_f64 v[213:214], v[61:62], s[18:19]
	v_fma_f64 v[247:248], v[59:60], s[38:39], v[247:248]
	v_mul_f64 v[152:153], v[63:64], s[40:41]
	v_mul_f64 v[106:107], v[61:62], s[8:9]
	v_add_f64 v[65:66], v[92:93], v[74:75]
	v_add_f64 v[11:12], v[96:97], v[11:12]
	v_fma_f64 v[67:68], v[57:58], s[30:31], -v[191:192]
	v_fma_f64 v[74:75], v[59:60], s[56:57], v[174:175]
	v_add_f64 v[37:38], v[39:40], v[37:38]
	v_add_f64 v[33:34], v[90:91], v[33:34]
	v_fma_f64 v[39:40], v[57:58], s[8:9], v[110:111]
	v_fma_f64 v[80:81], v[59:60], s[64:65], v[112:113]
	v_mul_f64 v[82:83], v[63:64], s[46:47]
	v_mul_f64 v[90:91], v[61:62], s[30:31]
	v_add_f64 v[35:36], v[98:99], v[35:36]
	v_add_f64 v[43:44], v[104:105], v[43:44]
	v_fma_f64 v[92:93], v[57:58], s[6:7], v[72:73]
	v_fma_f64 v[96:97], v[59:60], s[58:59], v[70:71]
	v_mul_f64 v[63:64], v[63:64], s[34:35]
	v_mul_f64 v[61:62], v[61:62], s[22:23]
	v_add_f64 v[23:24], v[78:79], v[23:24]
	v_add_f64 v[27:28], v[76:77], v[27:28]
	v_fma_f64 v[72:73], v[57:58], s[6:7], -v[72:73]
	v_fma_f64 v[70:71], v[59:60], s[44:45], v[70:71]
	v_add_f64 v[15:16], v[25:26], v[15:16]
	v_add_f64 v[21:22], v[41:42], v[21:22]
	v_fma_f64 v[25:26], v[57:58], s[8:9], -v[110:111]
	v_fma_f64 v[41:42], v[59:60], s[40:41], v[112:113]
	v_mul_f64 v[223:224], v[55:56], s[46:47]
	v_mul_f64 v[215:216], v[53:54], s[30:31]
	v_add_f64 v[150:151], v[247:248], v[150:151]
	v_fma_f64 v[247:248], v[51:52], s[36:37], v[213:214]
	v_mul_f64 v[217:218], v[55:56], s[36:37]
	v_mul_f64 v[241:242], v[53:54], s[18:19]
	v_add_f64 v[116:117], v[116:117], v[122:123]
	v_mul_f64 v[199:200], v[55:56], s[44:45]
	v_mul_f64 v[124:125], v[53:54], s[6:7]
	v_fma_f64 v[84:85], v[49:50], s[8:9], v[152:153]
	v_fma_f64 v[172:173], v[51:52], s[64:65], v[106:107]
	v_add_f64 v[57:58], v[67:68], v[65:66]
	v_add_f64 v[11:12], v[74:75], v[11:12]
	v_fma_f64 v[59:60], v[49:50], s[8:9], -v[152:153]
	v_add_f64 v[37:38], v[39:40], v[37:38]
	v_add_f64 v[33:34], v[80:81], v[33:34]
	v_fma_f64 v[39:40], v[49:50], s[30:31], v[82:83]
	v_fma_f64 v[67:68], v[51:52], s[56:57], v[90:91]
	v_mul_f64 v[74:75], v[55:56], s[34:35]
	v_mul_f64 v[76:77], v[53:54], s[22:23]
	v_add_f64 v[35:36], v[92:93], v[35:36]
	v_add_f64 v[43:44], v[96:97], v[43:44]
	v_fma_f64 v[78:79], v[49:50], s[22:23], v[63:64]
	v_fma_f64 v[80:81], v[51:52], s[60:61], v[61:62]
	v_mul_f64 v[55:56], v[55:56], s[42:43]
	v_mul_f64 v[53:54], v[53:54], s[20:21]
	v_fma_f64 v[65:66], v[51:52], s[40:41], v[106:107]
	v_add_f64 v[23:24], v[72:73], v[23:24]
	v_add_f64 v[27:28], v[70:71], v[27:28]
	v_fma_f64 v[63:64], v[49:50], s[22:23], -v[63:64]
	v_fma_f64 v[61:62], v[51:52], s[34:35], v[61:62]
	v_add_f64 v[15:16], v[25:26], v[15:16]
	v_add_f64 v[21:22], v[41:42], v[21:22]
	v_fma_f64 v[25:26], v[49:50], s[30:31], -v[82:83]
	v_fma_f64 v[41:42], v[51:52], s[46:47], v[90:91]
	v_fma_f64 v[183:184], v[51:52], s[50:51], v[183:184]
	v_fma_f64 v[237:238], v[45:46], s[16:17], -v[237:238]
	v_fma_f64 v[213:214], v[51:52], s[54:55], v[213:214]
	v_fma_f64 v[122:123], v[45:46], s[30:31], v[223:224]
	;; [unrolled: 1-line block ×3, first 2 shown]
	v_add_f64 v[108:109], v[245:246], v[108:109]
	v_add_f64 v[120:121], v[247:248], v[120:121]
	v_fma_f64 v[243:244], v[45:46], s[18:19], v[217:218]
	v_fma_f64 v[142:143], v[47:48], s[54:55], v[241:242]
	v_add_f64 v[116:117], v[231:232], v[116:117]
	v_add_f64 v[49:50], v[84:85], v[138:139]
	;; [unrolled: 1-line block ×3, first 2 shown]
	v_fma_f64 v[70:71], v[45:46], s[6:7], v[199:200]
	v_fma_f64 v[72:73], v[47:48], s[58:59], v[124:125]
	v_add_f64 v[57:58], v[59:60], v[57:58]
	v_fma_f64 v[59:60], v[45:46], s[6:7], -v[199:200]
	v_add_f64 v[82:83], v[39:40], v[37:38]
	v_add_f64 v[67:68], v[67:68], v[33:34]
	v_fma_f64 v[84:85], v[45:46], s[22:23], v[74:75]
	v_fma_f64 v[90:91], v[47:48], s[60:61], v[76:77]
	v_add_f64 v[35:36], v[78:79], v[35:36]
	v_add_f64 v[78:79], v[80:81], v[43:44]
	v_fma_f64 v[80:81], v[45:46], s[20:21], v[55:56]
	v_fma_f64 v[92:93], v[47:48], s[52:53], v[53:54]
	v_add_f64 v[11:12], v[65:66], v[11:12]
	v_fma_f64 v[65:66], v[47:48], s[44:45], v[124:125]
	v_add_f64 v[23:24], v[63:64], v[23:24]
	v_add_f64 v[96:97], v[61:62], v[27:28]
	v_fma_f64 v[62:63], v[45:46], s[20:21], -v[55:56]
	v_fma_f64 v[98:99], v[47:48], s[42:43], v[53:54]
	v_add_f64 v[15:16], v[25:26], v[15:16]
	v_add_f64 v[104:105], v[41:42], v[21:22]
	v_fma_f64 v[74:75], v[45:46], s[22:23], -v[74:75]
	v_fma_f64 v[76:77], v[47:48], s[34:35], v[76:77]
	v_fma_f64 v[217:218], v[45:46], s[18:19], -v[217:218]
	v_fma_f64 v[241:242], v[47:48], s[36:37], v[241:242]
	v_add_f64 v[148:149], v[183:184], v[148:149]
	v_fma_f64 v[223:224], v[45:46], s[30:31], -v[223:224]
	v_add_f64 v[21:22], v[237:238], v[102:103]
	v_add_f64 v[102:103], v[213:214], v[150:151]
	v_fma_f64 v[106:107], v[47:48], s[46:47], v[215:216]
	v_fma_f64 v[189:190], v[47:48], s[38:39], v[189:190]
	;; [unrolled: 1-line block ×4, first 2 shown]
	v_add_f64 v[5:6], v[144:145], v[5:6]
	v_add_f64 v[25:26], v[122:123], v[108:109]
	v_add_f64 v[27:28], v[140:141], v[120:121]
	v_add_f64 v[37:38], v[243:244], v[116:117]
	v_add_f64 v[39:40], v[142:143], v[166:167]
	v_add_f64 v[46:47], v[70:71], v[49:50]
	v_add_f64 v[48:49], v[72:73], v[51:52]
	v_add_f64 v[50:51], v[59:60], v[57:58]
	v_add_f64 v[54:55], v[84:85], v[82:83]
	v_add_f64 v[56:57], v[90:91], v[67:68]
	v_add_f64 v[58:59], v[80:81], v[35:36]
	v_add_f64 v[60:61], v[92:93], v[78:79]
	v_add_f64 v[52:53], v[65:66], v[11:12]
	v_add_f64 v[62:63], v[62:63], v[23:24]
	v_add_f64 v[64:65], v[98:99], v[96:97]
	v_add_f64 v[70:71], v[74:75], v[15:16]
	v_add_f64 v[72:73], v[76:77], v[104:105]
	v_add_f64 v[41:42], v[217:218], v[180:181]
	v_add_f64 v[43:44], v[241:242], v[148:149]
	v_lshlrev_b32_e32 v45, 4, v250
	v_add_f64 v[33:34], v[223:224], v[132:133]
	v_add_f64 v[35:36], v[106:107], v[102:103]
	;; [unrolled: 1-line block ×5, first 2 shown]
	v_add3_u32 v0, 0, v0, v45
	ds_write_b128 v0, v[5:8]
	ds_write_b128 v0, v[1:4] offset:112
	ds_write_b128 v0, v[17:20] offset:224
	;; [unrolled: 1-line block ×16, first 2 shown]
	s_waitcnt lgkmcnt(0)
	s_barrier
	buffer_gl0_inv
	s_and_saveexec_b32 s29, vcc_lo
	s_cbranch_execz .LBB0_14
; %bb.13:
	v_mul_lo_u16 v0, v182, 31
	v_mov_b32_e32 v73, 4
	v_lshrrev_b16 v0, 9, v0
	v_mul_lo_u16 v0, v0, 17
	v_sub_nc_u16 v0, v182, v0
	v_and_b32_e32 v255, 0xff, v0
	v_mul_u32_u24_e32 v0, 0x70, v182
	v_lshlrev_b32_e32 v41, 8, v255
	v_mul_lo_u32 v70, v69, v255
	v_add3_u32 v0, 0, v0, v45
	v_add_nc_u32_e32 v53, 0x110, v255
	s_clause 0xf
	global_load_dwordx4 v[1:4], v41, s[66:67] offset:112
	global_load_dwordx4 v[29:32], v41, s[66:67] offset:128
	;; [unrolled: 1-line block ×14, first 2 shown]
	global_load_dwordx4 v[90:93], v41, s[66:67]
	global_load_dwordx4 v[41:44], v41, s[66:67] offset:240
	ds_read_b128 v[61:64], v0 offset:15232
	ds_read_b128 v[65:68], v0 offset:17136
	v_bfe_u32 v45, v70, 8, 8
	v_lshlrev_b32_sdwa v46, v73, v70 dst_sel:DWORD dst_unused:UNUSED_PAD src0_sel:DWORD src1_sel:BYTE_0
	v_mul_lo_u32 v71, v69, v53
	v_add_nc_u32_e32 v53, 0xff, v255
	v_lshl_or_b32 v49, v45, 4, 0x1000
	s_clause 0x1
	global_load_dwordx4 v[45:48], v46, s[12:13]
	global_load_dwordx4 v[49:52], v49, s[12:13]
	ds_read_b128 v[94:97], v0 offset:13328
	ds_read_b128 v[98:101], v0 offset:11424
	;; [unrolled: 1-line block ×3, first 2 shown]
	v_mul_lo_u32 v72, v69, v53
	v_bfe_u32 v54, v71, 8, 8
	v_lshlrev_b32_sdwa v53, v73, v71 dst_sel:DWORD dst_unused:UNUSED_PAD src0_sel:DWORD src1_sel:BYTE_0
	v_lshl_or_b32 v57, v54, 4, 0x1000
	s_clause 0x1
	global_load_dwordx4 v[53:56], v53, s[12:13]
	global_load_dwordx4 v[57:60], v57, s[12:13]
	v_bfe_u32 v112, v72, 8, 8
	s_waitcnt vmcnt(19) lgkmcnt(4)
	v_mul_f64 v[106:107], v[63:64], v[3:4]
	s_waitcnt vmcnt(18) lgkmcnt(3)
	v_mul_f64 v[108:109], v[67:68], v[31:32]
	;; [unrolled: 2-line block ×3, first 2 shown]
	v_mul_f64 v[27:28], v[94:95], v[27:28]
	v_mul_f64 v[3:4], v[61:62], v[3:4]
	;; [unrolled: 1-line block ×3, first 2 shown]
	v_fma_f64 v[147:148], v[61:62], v[1:2], v[106:107]
	v_lshl_or_b32 v62, v112, 4, 0x1000
	v_add_nc_u32_e32 v112, 0xee, v255
	v_fma_f64 v[171:172], v[65:66], v[29:30], v[108:109]
	s_waitcnt vmcnt(16) lgkmcnt(0)
	v_mul_f64 v[106:107], v[104:105], v[23:24]
	v_mul_f64 v[108:109], v[102:103], v[23:24]
	v_fma_f64 v[191:192], v[94:95], v[25:26], v[110:111]
	v_mul_lo_u32 v23, v69, v112
	v_fma_f64 v[189:190], v[96:97], v[25:26], -v[27:28]
	s_waitcnt vmcnt(15)
	v_mul_f64 v[24:25], v[100:101], v[19:20]
	v_mul_f64 v[26:27], v[98:99], v[19:20]
	v_lshlrev_b32_sdwa v61, v73, v72 dst_sel:DWORD dst_unused:UNUSED_PAD src0_sel:DWORD src1_sel:BYTE_0
	v_fma_f64 v[125:126], v[63:64], v[1:2], -v[3:4]
	ds_read_b128 v[1:4], v0 offset:20944
	v_fma_f64 v[155:156], v[67:68], v[29:30], -v[31:32]
	v_bfe_u32 v19, v23, 8, 8
	v_lshlrev_b32_sdwa v20, v73, v23 dst_sel:DWORD dst_unused:UNUSED_PAD src0_sel:DWORD src1_sel:BYTE_0
	s_clause 0x1
	global_load_dwordx4 v[29:32], v61, s[12:13]
	global_load_dwordx4 v[61:64], v62, s[12:13]
	v_lshl_or_b32 v19, v19, 4, 0x1000
	global_load_dwordx4 v[65:68], v20, s[12:13]
	v_fma_f64 v[175:176], v[102:103], v[21:22], v[106:107]
	v_fma_f64 v[163:164], v[104:105], v[21:22], -v[108:109]
	global_load_dwordx4 v[19:22], v19, s[12:13]
	v_fma_f64 v[195:196], v[98:99], v[17:18], v[24:25]
	v_fma_f64 v[185:186], v[100:101], v[17:18], -v[26:27]
	s_waitcnt vmcnt(18) lgkmcnt(0)
	v_mul_f64 v[94:95], v[3:4], v[15:16]
	v_mul_f64 v[96:97], v[1:2], v[15:16]
	ds_read_b128 v[15:18], v0 offset:9520
	ds_read_b128 v[24:27], v0 offset:7616
	v_fma_f64 v[157:158], v[1:2], v[13:14], v[94:95]
	v_fma_f64 v[97:98], v[3:4], v[13:14], -v[96:97]
	s_waitcnt vmcnt(17) lgkmcnt(1)
	v_mul_f64 v[13:14], v[17:18], v[11:12]
	v_mul_f64 v[11:12], v[15:16], v[11:12]
	ds_read_b128 v[1:4], v0 offset:22848
	v_fma_f64 v[217:218], v[15:16], v[9:10], v[13:14]
	v_fma_f64 v[211:212], v[17:18], v[9:10], -v[11:12]
	ds_read_b128 v[9:12], v0 offset:24752
	s_waitcnt vmcnt(16) lgkmcnt(1)
	v_mul_f64 v[13:14], v[3:4], v[7:8]
	v_mul_f64 v[7:8], v[1:2], v[7:8]
	s_waitcnt vmcnt(14) lgkmcnt(0)
	v_mul_f64 v[15:16], v[9:10], v[39:40]
	v_fma_f64 v[181:182], v[1:2], v[5:6], v[13:14]
	v_fma_f64 v[153:154], v[3:4], v[5:6], -v[7:8]
	v_mul_f64 v[1:2], v[26:27], v[35:36]
	v_mul_f64 v[3:4], v[24:25], v[35:36]
	v_mul_f64 v[13:14], v[11:12], v[39:40]
	v_fma_f64 v[219:220], v[24:25], v[33:34], v[1:2]
	v_fma_f64 v[173:174], v[26:27], v[33:34], -v[3:4]
	ds_read_b128 v[1:4], v0 offset:5712
	ds_read_b128 v[5:8], v0 offset:3808
	v_fma_f64 v[149:150], v[9:10], v[37:38], v[13:14]
	v_fma_f64 v[27:28], v[11:12], v[37:38], -v[15:16]
	ds_read_b128 v[9:12], v0 offset:26656
	s_waitcnt vmcnt(13) lgkmcnt(2)
	v_mul_f64 v[13:14], v[3:4], v[76:77]
	v_mul_f64 v[15:16], v[1:2], v[76:77]
	v_fma_f64 v[223:224], v[1:2], v[74:75], v[13:14]
	v_fma_f64 v[221:222], v[3:4], v[74:75], -v[15:16]
	ds_read_b128 v[1:4], v0 offset:28560
	s_waitcnt vmcnt(12) lgkmcnt(1)
	v_mul_f64 v[13:14], v[11:12], v[80:81]
	v_mul_f64 v[15:16], v[9:10], v[80:81]
	s_waitcnt vmcnt(10) lgkmcnt(0)
	v_mul_f64 v[17:18], v[1:2], v[88:89]
	v_fma_f64 v[169:170], v[9:10], v[78:79], v[13:14]
	v_fma_f64 v[145:146], v[11:12], v[78:79], -v[15:16]
	v_mul_f64 v[9:10], v[7:8], v[84:85]
	v_mul_f64 v[11:12], v[5:6], v[84:85]
	;; [unrolled: 1-line block ×3, first 2 shown]
	v_fma_f64 v[25:26], v[3:4], v[86:87], -v[17:18]
	v_fma_f64 v[225:226], v[5:6], v[82:83], v[9:10]
	v_fma_f64 v[161:162], v[7:8], v[82:83], -v[11:12]
	ds_read_b128 v[11:14], v0 offset:1904
	ds_read_b128 v[5:8], v0 offset:30464
	v_fma_f64 v[141:142], v[1:2], v[86:87], v[15:16]
	buffer_store_dword v249, off, s[68:71], 0 offset:4 ; 4-byte Folded Spill
	buffer_store_dword v250, off, s[68:71], 0 ; 4-byte Folded Spill
	ds_read_b128 v[249:252], v0
	v_bfe_u32 v0, v70, 16, 8
	v_bfe_u32 v1, v72, 16, 8
	v_lshl_or_b32 v0, v0, 4, 0x2000
	v_lshl_or_b32 v1, v1, 4, 0x2000
	global_load_dwordx4 v[237:240], v0, s[12:13]
	v_bfe_u32 v0, v71, 16, 8
	s_waitcnt vmcnt(10) lgkmcnt(2)
	v_mul_f64 v[15:16], v[13:14], v[92:93]
	v_mul_f64 v[17:18], v[11:12], v[92:93]
	s_waitcnt vmcnt(9) lgkmcnt(1)
	v_mul_f64 v[9:10], v[7:8], v[43:44]
	v_lshl_or_b32 v0, v0, 4, 0x2000
	v_fma_f64 v[227:228], v[11:12], v[90:91], v[15:16]
	v_fma_f64 v[229:230], v[13:14], v[90:91], -v[17:18]
	v_mul_f64 v[11:12], v[5:6], v[43:44]
	s_waitcnt vmcnt(7)
	v_mul_f64 v[13:14], v[47:48], v[51:52]
	v_fma_f64 v[231:232], v[5:6], v[41:42], v[9:10]
	v_mul_f64 v[15:16], v[45:46], v[51:52]
	v_fma_f64 v[43:44], v[7:8], v[41:42], -v[11:12]
	s_clause 0x1
	global_load_dwordx4 v[5:8], v0, s[12:13]
	global_load_dwordx4 v[9:12], v1, s[12:13]
	v_fma_f64 v[0:1], v[45:46], v[49:50], -v[13:14]
	buffer_store_dword v0, off, s[68:71], 0 offset:88 ; 4-byte Folded Spill
	buffer_store_dword v1, off, s[68:71], 0 offset:92 ; 4-byte Folded Spill
	v_fma_f64 v[0:1], v[47:48], v[49:50], v[15:16]
	s_waitcnt vmcnt(7)
	v_mul_f64 v[13:14], v[55:56], v[59:60]
	buffer_store_dword v0, off, s[68:71], 0 offset:96 ; 4-byte Folded Spill
	buffer_store_dword v1, off, s[68:71], 0 offset:100 ; 4-byte Folded Spill
	v_mul_f64 v[15:16], v[53:54], v[59:60]
	v_add_nc_u32_e32 v0, 0xdd, v255
	s_waitcnt vmcnt(5)
	v_mul_f64 v[37:38], v[31:32], v[63:64]
	v_mul_f64 v[39:40], v[29:30], v[63:64]
	v_fma_f64 v[81:82], v[53:54], v[57:58], -v[13:14]
	v_bfe_u32 v1, v23, 16, 8
	v_mul_lo_u32 v0, v69, v0
	v_lshl_or_b32 v1, v1, 4, 0x2000
	s_waitcnt vmcnt(3)
	v_mul_f64 v[13:14], v[67:68], v[21:22]
	v_mul_f64 v[21:22], v[65:66], v[21:22]
	v_bfe_u32 v2, v0, 16, 8
	v_lshl_or_b32 v2, v2, 4, 0x2000
	v_fma_f64 v[85:86], v[55:56], v[57:58], v[15:16]
	s_clause 0x1
	global_load_dwordx4 v[15:18], v1, s[12:13]
	global_load_dwordx4 v[33:36], v2, s[12:13]
	v_bfe_u32 v1, v0, 8, 8
	v_lshlrev_b32_sdwa v0, v73, v0 dst_sel:DWORD dst_unused:UNUSED_PAD src0_sel:DWORD src1_sel:BYTE_0
	v_fma_f64 v[91:92], v[29:30], v[61:62], -v[37:38]
	v_fma_f64 v[111:112], v[31:32], v[61:62], v[39:40]
	v_lshl_or_b32 v1, v1, 4, 0x1000
	v_fma_f64 v[113:114], v[65:66], v[19:20], -v[13:14]
	v_fma_f64 v[117:118], v[67:68], v[19:20], v[21:22]
	s_clause 0x1
	global_load_dwordx4 v[19:22], v0, s[12:13]
	global_load_dwordx4 v[29:32], v1, s[12:13]
	v_add_nc_u32_e32 v0, 0xcc, v255
	v_add_nc_u32_e32 v1, 0xbb, v255
	v_mul_lo_u32 v0, v69, v0
	v_mul_lo_u32 v1, v69, v1
	v_bfe_u32 v2, v0, 8, 8
	v_bfe_u32 v3, v0, 16, 8
	;; [unrolled: 1-line block ×3, first 2 shown]
	v_lshlrev_b32_sdwa v0, v73, v0 dst_sel:DWORD dst_unused:UNUSED_PAD src0_sel:DWORD src1_sel:BYTE_0
	v_lshl_or_b32 v2, v2, 4, 0x1000
	v_lshl_or_b32 v3, v3, 4, 0x2000
	;; [unrolled: 1-line block ×3, first 2 shown]
	s_waitcnt vmcnt(0)
	v_mul_f64 v[13:14], v[21:22], v[31:32]
	v_mul_f64 v[23:24], v[19:20], v[31:32]
	v_fma_f64 v[119:120], v[19:20], v[29:30], -v[13:14]
	v_fma_f64 v[127:128], v[21:22], v[29:30], v[23:24]
	s_clause 0x3
	global_load_dwordx4 v[19:22], v2, s[12:13]
	global_load_dwordx4 v[29:32], v0, s[12:13]
	;; [unrolled: 1-line block ×4, first 2 shown]
	v_bfe_u32 v0, v1, 8, 8
	v_lshlrev_b32_sdwa v1, v73, v1 dst_sel:DWORD dst_unused:UNUSED_PAD src0_sel:DWORD src1_sel:BYTE_0
	v_lshl_or_b32 v0, v0, 4, 0x1000
	s_waitcnt vmcnt(2)
	v_mul_f64 v[13:14], v[31:32], v[21:22]
	v_fma_f64 v[129:130], v[29:30], v[19:20], -v[13:14]
	v_mul_f64 v[13:14], v[29:30], v[21:22]
	v_fma_f64 v[133:134], v[31:32], v[19:20], v[13:14]
	s_clause 0x1
	global_load_dwordx4 v[19:22], v1, s[12:13]
	global_load_dwordx4 v[29:32], v0, s[12:13]
	v_add_nc_u32_e32 v0, 0xaa, v255
	v_add_nc_u32_e32 v1, 0x99, v255
	v_mul_lo_u32 v0, v69, v0
	v_mul_lo_u32 v1, v69, v1
	v_bfe_u32 v2, v0, 8, 8
	v_bfe_u32 v3, v0, 16, 8
	v_bfe_u32 v4, v1, 16, 8
	v_lshlrev_b32_sdwa v0, v73, v0 dst_sel:DWORD dst_unused:UNUSED_PAD src0_sel:DWORD src1_sel:BYTE_0
	v_lshl_or_b32 v2, v2, 4, 0x1000
	v_lshl_or_b32 v3, v3, 4, 0x2000
	v_lshl_or_b32 v4, v4, 4, 0x2000
	s_waitcnt vmcnt(0)
	v_mul_f64 v[13:14], v[21:22], v[31:32]
	v_fma_f64 v[135:136], v[19:20], v[29:30], -v[13:14]
	v_mul_f64 v[13:14], v[19:20], v[31:32]
	v_fma_f64 v[137:138], v[21:22], v[29:30], v[13:14]
	s_clause 0x3
	global_load_dwordx4 v[19:22], v2, s[12:13]
	global_load_dwordx4 v[29:32], v0, s[12:13]
	global_load_dwordx4 v[205:208], v3, s[12:13]
	global_load_dwordx4 v[165:168], v4, s[12:13]
	v_bfe_u32 v0, v1, 8, 8
	v_lshlrev_b32_sdwa v1, v73, v1 dst_sel:DWORD dst_unused:UNUSED_PAD src0_sel:DWORD src1_sel:BYTE_0
	v_lshl_or_b32 v0, v0, 4, 0x1000
	s_waitcnt vmcnt(2)
	v_mul_f64 v[13:14], v[31:32], v[21:22]
	v_mul_f64 v[21:22], v[29:30], v[21:22]
	v_fma_f64 v[93:94], v[29:30], v[19:20], -v[13:14]
	v_fma_f64 v[88:89], v[31:32], v[19:20], v[21:22]
	s_clause 0x1
	global_load_dwordx4 v[19:22], v1, s[12:13]
	global_load_dwordx4 v[29:32], v0, s[12:13]
	v_add_nc_u32_e32 v0, 0x88, v255
	v_add_nc_u32_e32 v1, 0x77, v255
	v_mul_lo_u32 v0, v69, v0
	v_mul_lo_u32 v1, v69, v1
	v_bfe_u32 v2, v0, 8, 8
	v_bfe_u32 v3, v0, 16, 8
	v_bfe_u32 v4, v1, 16, 8
	v_lshlrev_b32_sdwa v0, v73, v0 dst_sel:DWORD dst_unused:UNUSED_PAD src0_sel:DWORD src1_sel:BYTE_0
	v_lshl_or_b32 v2, v2, 4, 0x1000
	v_lshl_or_b32 v3, v3, 4, 0x2000
	v_lshl_or_b32 v4, v4, 4, 0x2000
	s_waitcnt vmcnt(0)
	v_mul_f64 v[41:42], v[21:22], v[31:32]
	v_fma_f64 v[121:122], v[19:20], v[29:30], -v[41:42]
	v_mul_f64 v[19:20], v[19:20], v[31:32]
	v_fma_f64 v[115:116], v[21:22], v[29:30], v[19:20]
	s_clause 0x3
	global_load_dwordx4 v[19:22], v2, s[12:13]
	global_load_dwordx4 v[29:32], v0, s[12:13]
	global_load_dwordx4 v[213:216], v3, s[12:13]
	global_load_dwordx4 v[45:48], v4, s[12:13]
	v_bfe_u32 v0, v1, 8, 8
	v_lshlrev_b32_sdwa v1, v73, v1 dst_sel:DWORD dst_unused:UNUSED_PAD src0_sel:DWORD src1_sel:BYTE_0
	v_lshl_or_b32 v0, v0, 4, 0x1000
	s_waitcnt vmcnt(2)
	v_mul_f64 v[49:50], v[31:32], v[21:22]
	v_mul_f64 v[21:22], v[29:30], v[21:22]
	v_fma_f64 v[187:188], v[29:30], v[19:20], -v[49:50]
	;; [unrolled: 32-line block ×4, first 2 shown]
	v_fma_f64 v[177:178], v[31:32], v[19:20], v[21:22]
	s_clause 0x1
	global_load_dwordx4 v[19:22], v1, s[12:13]
	global_load_dwordx4 v[29:32], v0, s[12:13]
	v_add_nc_u32_e32 v0, 34, v255
	v_add_nc_u32_e32 v1, 17, v255
	v_mul_lo_u32 v0, v69, v0
	v_mul_lo_u32 v1, v69, v1
	v_bfe_u32 v2, v0, 8, 8
	v_bfe_u32 v3, v0, 16, 8
	;; [unrolled: 1-line block ×3, first 2 shown]
	v_lshlrev_b32_sdwa v0, v73, v0 dst_sel:DWORD dst_unused:UNUSED_PAD src0_sel:DWORD src1_sel:BYTE_0
	v_lshl_or_b32 v2, v2, 4, 0x1000
	v_lshl_or_b32 v3, v3, 4, 0x2000
	;; [unrolled: 1-line block ×3, first 2 shown]
	s_waitcnt vmcnt(0)
	v_mul_f64 v[65:66], v[21:22], v[31:32]
	v_fma_f64 v[159:160], v[19:20], v[29:30], -v[65:66]
	v_mul_f64 v[19:20], v[19:20], v[31:32]
	v_fma_f64 v[151:152], v[21:22], v[29:30], v[19:20]
	s_clause 0x3
	global_load_dwordx4 v[19:22], v2, s[12:13]
	global_load_dwordx4 v[103:106], v0, s[12:13]
	;; [unrolled: 1-line block ×4, first 2 shown]
	v_lshlrev_b32_sdwa v0, v73, v1 dst_sel:DWORD dst_unused:UNUSED_PAD src0_sel:DWORD src1_sel:BYTE_0
	v_bfe_u32 v1, v1, 8, 8
	v_mov_b32_e32 v2, v141
	v_mov_b32_e32 v3, v142
	v_lshl_or_b32 v1, v1, 4, 0x1000
	s_waitcnt vmcnt(2)
	v_mul_f64 v[29:30], v[105:106], v[21:22]
	v_mul_f64 v[21:22], v[103:104], v[21:22]
	v_fma_f64 v[143:144], v[103:104], v[19:20], -v[29:30]
	v_fma_f64 v[139:140], v[105:106], v[19:20], v[21:22]
	s_clause 0x1
	global_load_dwordx4 v[103:106], v0, s[12:13]
	global_load_dwordx4 v[107:110], v1, s[12:13]
	buffer_store_dword v227, off, s[68:71], 0 offset:592 ; 4-byte Folded Spill
	buffer_store_dword v228, off, s[68:71], 0 offset:596 ; 4-byte Folded Spill
	;; [unrolled: 1-line block ×8, first 2 shown]
	v_mul_f64 v[29:30], v[85:86], v[7:8]
	v_mul_f64 v[7:8], v[81:82], v[7:8]
	v_fma_f64 v[29:30], v[5:6], v[81:82], -v[29:30]
	v_fma_f64 v[7:8], v[5:6], v[85:86], v[7:8]
	v_mul_f64 v[5:6], v[111:112], v[11:12]
	v_add_f64 v[37:38], v[227:228], -v[231:232]
	s_waitcnt vmcnt(0)
	v_mul_f64 v[19:20], v[105:106], v[109:110]
	v_add_f64 v[253:254], v[229:230], v[43:44]
	v_add_f64 v[43:44], v[229:230], -v[43:44]
	v_mul_f64 v[0:1], v[37:38], s[50:51]
	buffer_store_dword v0, off, s[68:71], 0 offset:712 ; 4-byte Folded Spill
	buffer_store_dword v1, off, s[68:71], 0 offset:716 ; 4-byte Folded Spill
	;; [unrolled: 1-line block ×6, first 2 shown]
	v_fma_f64 v[131:132], v[103:104], v[107:108], -v[19:20]
	v_mul_f64 v[19:20], v[103:104], v[109:110]
	v_mul_f64 v[243:244], v[37:38], s[58:59]
	;; [unrolled: 1-line block ×3, first 2 shown]
	v_fma_f64 v[123:124], v[105:106], v[107:108], v[19:20]
	v_fma_f64 v[105:106], v[9:10], v[91:92], -v[5:6]
	v_mul_f64 v[5:6], v[91:92], v[11:12]
	v_fma_f64 v[80:81], v[9:10], v[111:112], v[5:6]
	v_mul_f64 v[5:6], v[117:118], v[17:18]
	v_fma_f64 v[85:86], v[15:16], v[113:114], -v[5:6]
	v_mul_f64 v[5:6], v[113:114], v[17:18]
	v_fma_f64 v[95:96], v[15:16], v[117:118], v[5:6]
	v_mul_f64 v[5:6], v[127:128], v[35:36]
	;; [unrolled: 4-line block ×4, first 2 shown]
	v_fma_f64 v[82:83], v[99:100], v[135:136], -v[5:6]
	v_mul_f64 v[5:6], v[135:136], v[101:102]
	v_fma_f64 v[77:78], v[99:100], v[137:138], v[5:6]
	v_fma_f64 v[5:6], v[253:254], s[4:5], v[0:1]
	v_add_f64 v[35:36], v[225:226], -v[2:3]
	v_mov_b32_e32 v0, v25
	v_mov_b32_e32 v1, v26
	buffer_store_dword v0, off, s[68:71], 0 offset:136 ; 4-byte Folded Spill
	buffer_store_dword v1, off, s[68:71], 0 offset:140 ; 4-byte Folded Spill
	;; [unrolled: 1-line block ×4, first 2 shown]
	v_add_f64 v[25:26], v[227:228], v[231:232]
	s_waitcnt lgkmcnt(0)
	v_add_f64 v[5:6], v[251:252], v[5:6]
	v_mul_f64 v[9:10], v[35:36], s[56:57]
	buffer_store_dword v9, off, s[68:71], 0 offset:184 ; 4-byte Folded Spill
	buffer_store_dword v10, off, s[68:71], 0 offset:188 ; 4-byte Folded Spill
	v_mul_f64 v[245:246], v[35:36], s[62:63]
	v_mul_f64 v[137:138], v[35:36], s[60:61]
	;; [unrolled: 1-line block ×3, first 2 shown]
	v_add_f64 v[141:142], v[161:162], v[0:1]
	v_add_f64 v[41:42], v[161:162], -v[0:1]
	v_add_f64 v[161:162], v[225:226], v[2:3]
	v_mul_f64 v[0:1], v[41:42], s[56:57]
	v_fma_f64 v[75:76], v[141:142], s[30:31], v[9:10]
	v_add_f64 v[75:76], v[75:76], v[5:6]
	v_mul_f64 v[4:5], v[43:44], s[50:51]
	buffer_store_dword v4, off, s[68:71], 0 offset:720 ; 4-byte Folded Spill
	buffer_store_dword v5, off, s[68:71], 0 offset:724 ; 4-byte Folded Spill
	;; [unrolled: 1-line block ×8, first 2 shown]
	v_fma_f64 v[91:92], v[25:26], s[4:5], -v[4:5]
	v_fma_f64 v[99:100], v[161:162], s[30:31], -v[0:1]
	v_mov_b32_e32 v0, v145
	v_mov_b32_e32 v1, v146
	buffer_store_dword v0, off, s[68:71], 0 offset:152 ; 4-byte Folded Spill
	buffer_store_dword v1, off, s[68:71], 0 offset:156 ; 4-byte Folded Spill
	;; [unrolled: 1-line block ×4, first 2 shown]
	v_add_f64 v[23:24], v[223:224], -v[169:170]
	v_add_f64 v[169:170], v[223:224], v[169:170]
	v_add_f64 v[91:92], v[249:250], v[91:92]
	v_mul_f64 v[2:3], v[23:24], s[58:59]
	buffer_store_dword v2, off, s[68:71], 0 offset:192 ; 4-byte Folded Spill
	buffer_store_dword v3, off, s[68:71], 0 offset:196 ; 4-byte Folded Spill
	v_add_f64 v[91:92], v[99:100], v[91:92]
	v_mul_f64 v[233:234], v[23:24], s[46:47]
	v_mul_f64 v[133:134], v[23:24], s[50:51]
	v_add_f64 v[39:40], v[221:222], -v[0:1]
	v_add_f64 v[145:146], v[221:222], v[0:1]
	v_mul_f64 v[0:1], v[39:40], s[58:59]
	buffer_store_dword v0, off, s[68:71], 0 offset:256 ; 4-byte Folded Spill
	buffer_store_dword v1, off, s[68:71], 0 offset:260 ; 4-byte Folded Spill
	v_fma_f64 v[99:100], v[145:146], s[6:7], v[2:3]
	v_mov_b32_e32 v2, v149
	v_mov_b32_e32 v3, v150
	buffer_store_dword v2, off, s[68:71], 0 offset:176 ; 4-byte Folded Spill
	buffer_store_dword v3, off, s[68:71], 0 offset:180 ; 4-byte Folded Spill
	;; [unrolled: 1-line block ×4, first 2 shown]
	v_add_f64 v[75:76], v[99:100], v[75:76]
	v_fma_f64 v[99:100], v[169:170], s[6:7], -v[0:1]
	v_mov_b32_e32 v0, v27
	v_mov_b32_e32 v1, v28
	buffer_store_dword v0, off, s[68:71], 0 offset:168 ; 4-byte Folded Spill
	buffer_store_dword v1, off, s[68:71], 0 offset:172 ; 4-byte Folded Spill
	;; [unrolled: 1-line block ×4, first 2 shown]
	v_add_f64 v[19:20], v[219:220], -v[2:3]
	v_add_f64 v[91:92], v[99:100], v[91:92]
	v_mul_f64 v[99:100], v[23:24], s[52:53]
	v_mul_f64 v[4:5], v[19:20], s[52:53]
	buffer_store_dword v4, off, s[68:71], 0 offset:208 ; 4-byte Folded Spill
	buffer_store_dword v5, off, s[68:71], 0 offset:212 ; 4-byte Folded Spill
	v_mul_f64 v[229:230], v[19:20], s[58:59]
	v_mul_f64 v[129:130], v[19:20], s[38:39]
	v_add_f64 v[33:34], v[173:174], -v[0:1]
	v_add_f64 v[149:150], v[173:174], v[0:1]
	v_add_f64 v[173:174], v[219:220], v[2:3]
	v_mul_f64 v[0:1], v[33:34], s[52:53]
	buffer_store_dword v0, off, s[68:71], 0 offset:264 ; 4-byte Folded Spill
	buffer_store_dword v1, off, s[68:71], 0 offset:268 ; 4-byte Folded Spill
	v_fma_f64 v[27:28], v[149:150], s[20:21], v[4:5]
	buffer_store_dword v181, off, s[68:71], 0 offset:248 ; 4-byte Folded Spill
	buffer_store_dword v182, off, s[68:71], 0 offset:252 ; 4-byte Folded Spill
	buffer_store_dword v217, off, s[68:71], 0 offset:400 ; 4-byte Folded Spill
	buffer_store_dword v218, off, s[68:71], 0 offset:404 ; 4-byte Folded Spill
	v_mul_f64 v[241:242], v[33:34], s[58:59]
	v_mul_f64 v[135:136], v[33:34], s[38:39]
	v_add_f64 v[27:28], v[27:28], v[75:76]
	v_fma_f64 v[75:76], v[173:174], s[20:21], -v[0:1]
	v_mov_b32_e32 v0, v153
	v_mov_b32_e32 v1, v154
	buffer_store_dword v0, off, s[68:71], 0 offset:200 ; 4-byte Folded Spill
	buffer_store_dword v1, off, s[68:71], 0 offset:204 ; 4-byte Folded Spill
	;; [unrolled: 1-line block ×4, first 2 shown]
	v_add_f64 v[15:16], v[217:218], -v[181:182]
	v_add_f64 v[181:182], v[217:218], v[181:182]
	v_add_f64 v[75:76], v[75:76], v[91:92]
	v_mul_f64 v[4:5], v[15:16], s[34:35]
	buffer_store_dword v4, off, s[68:71], 0 offset:216 ; 4-byte Folded Spill
	buffer_store_dword v5, off, s[68:71], 0 offset:220 ; 4-byte Folded Spill
	v_mul_f64 v[223:224], v[15:16], s[40:41]
	v_mul_f64 v[117:118], v[15:16], s[42:43]
	v_add_f64 v[31:32], v[211:212], -v[0:1]
	v_add_f64 v[153:154], v[211:212], v[0:1]
	v_mul_f64 v[0:1], v[31:32], s[34:35]
	buffer_store_dword v0, off, s[68:71], 0 offset:280 ; 4-byte Folded Spill
	buffer_store_dword v1, off, s[68:71], 0 offset:284 ; 4-byte Folded Spill
	v_fma_f64 v[91:92], v[153:154], s[22:23], v[4:5]
	v_mul_f64 v[235:236], v[31:32], s[40:41]
	v_mul_f64 v[127:128], v[31:32], s[42:43]
	v_add_f64 v[27:28], v[91:92], v[27:28]
	v_fma_f64 v[91:92], v[181:182], s[22:23], -v[0:1]
	v_mov_b32_e32 v0, v157
	v_mov_b32_e32 v1, v158
	buffer_store_dword v0, off, s[68:71], 0 offset:328 ; 4-byte Folded Spill
	buffer_store_dword v1, off, s[68:71], 0 offset:332 ; 4-byte Folded Spill
	;; [unrolled: 1-line block ×8, first 2 shown]
	v_add_f64 v[75:76], v[91:92], v[75:76]
	v_add_f64 v[9:10], v[195:196], -v[0:1]
	v_add_f64 v[21:22], v[185:186], -v[97:98]
	v_add_f64 v[157:158], v[185:186], v[97:98]
	v_add_f64 v[185:186], v[195:196], v[0:1]
	v_mul_f64 v[195:196], v[37:38], s[52:53]
	v_mul_f64 v[97:98], v[15:16], s[50:51]
	;; [unrolled: 1-line block ×3, first 2 shown]
	buffer_store_dword v2, off, s[68:71], 0 offset:224 ; 4-byte Folded Spill
	buffer_store_dword v3, off, s[68:71], 0 offset:228 ; 4-byte Folded Spill
	v_mul_f64 v[0:1], v[21:22], s[36:37]
	buffer_store_dword v0, off, s[68:71], 0 offset:288 ; 4-byte Folded Spill
	buffer_store_dword v1, off, s[68:71], 0 offset:292 ; 4-byte Folded Spill
	;; [unrolled: 1-line block ×6, first 2 shown]
	v_mul_f64 v[219:220], v[9:10], s[42:43]
	v_mul_f64 v[231:232], v[21:22], s[42:43]
	v_fma_f64 v[91:92], v[157:158], s[18:19], v[2:3]
	v_add_f64 v[27:28], v[91:92], v[27:28]
	v_fma_f64 v[91:92], v[185:186], s[18:19], -v[0:1]
	v_mov_b32_e32 v0, v163
	v_mov_b32_e32 v1, v164
	buffer_store_dword v0, off, s[68:71], 0 offset:360 ; 4-byte Folded Spill
	buffer_store_dword v1, off, s[68:71], 0 offset:364 ; 4-byte Folded Spill
	;; [unrolled: 1-line block ×4, first 2 shown]
	v_add_f64 v[5:6], v[191:192], -v[175:176]
	v_add_f64 v[75:76], v[91:92], v[75:76]
	v_mul_f64 v[2:3], v[5:6], s[38:39]
	buffer_store_dword v2, off, s[68:71], 0 offset:240 ; 4-byte Folded Spill
	buffer_store_dword v3, off, s[68:71], 0 offset:244 ; 4-byte Folded Spill
	v_mul_f64 v[217:218], v[5:6], s[50:51]
	v_mul_f64 v[211:212], v[5:6], s[40:41]
	v_add_f64 v[17:18], v[189:190], -v[0:1]
	v_add_f64 v[163:164], v[189:190], v[0:1]
	v_add_f64 v[189:190], v[191:192], v[175:176]
	v_mul_f64 v[0:1], v[17:18], s[38:39]
	buffer_store_dword v0, off, s[68:71], 0 offset:312 ; 4-byte Folded Spill
	buffer_store_dword v1, off, s[68:71], 0 offset:316 ; 4-byte Folded Spill
	;; [unrolled: 1-line block ×6, first 2 shown]
	v_fma_f64 v[91:92], v[163:164], s[16:17], v[2:3]
	buffer_store_dword v147, off, s[68:71], 0 offset:464 ; 4-byte Folded Spill
	buffer_store_dword v148, off, s[68:71], 0 offset:468 ; 4-byte Folded Spill
	;; [unrolled: 1-line block ×4, first 2 shown]
	v_mul_f64 v[227:228], v[17:18], s[50:51]
	v_mul_f64 v[119:120], v[17:18], s[40:41]
	v_add_f64 v[27:28], v[91:92], v[27:28]
	v_fma_f64 v[91:92], v[189:190], s[16:17], -v[0:1]
	v_add_f64 v[13:14], v[125:126], -v[155:156]
	v_add_f64 v[191:192], v[125:126], v[155:156]
	v_add_f64 v[175:176], v[147:148], v[171:172]
	v_add_f64 v[11:12], v[147:148], -v[171:172]
	v_mul_f64 v[171:172], v[43:44], s[58:59]
	v_mul_f64 v[155:156], v[41:42], s[60:61]
	;; [unrolled: 1-line block ×4, first 2 shown]
	v_add_f64 v[75:76], v[91:92], v[75:76]
	v_mul_f64 v[0:1], v[13:14], s[40:41]
	buffer_store_dword v0, off, s[68:71], 0 offset:272 ; 4-byte Folded Spill
	buffer_store_dword v1, off, s[68:71], 0 offset:276 ; 4-byte Folded Spill
	v_mul_f64 v[225:226], v[13:14], s[36:37]
	v_mul_f64 v[221:222], v[11:12], s[36:37]
	;; [unrolled: 1-line block ×3, first 2 shown]
	v_fma_f64 v[91:92], v[175:176], s[8:9], -v[0:1]
	v_mul_f64 v[0:1], v[11:12], s[40:41]
	buffer_store_dword v0, off, s[68:71], 0 offset:304 ; 4-byte Folded Spill
	buffer_store_dword v1, off, s[68:71], 0 offset:308 ; 4-byte Folded Spill
	v_add_f64 v[75:76], v[91:92], v[75:76]
	v_fma_f64 v[91:92], v[191:192], s[8:9], v[0:1]
	v_add_f64 v[27:28], v[91:92], v[27:28]
	v_mul_f64 v[91:92], v[75:76], v[7:8]
	v_mul_f64 v[7:8], v[27:28], v[7:8]
	v_fma_f64 v[2:3], v[27:28], v[29:30], -v[91:92]
	v_fma_f64 v[0:1], v[75:76], v[29:30], v[7:8]
	buffer_store_dword v0, off, s[68:71], 0 offset:8 ; 4-byte Folded Spill
	buffer_store_dword v1, off, s[68:71], 0 offset:12 ; 4-byte Folded Spill
	buffer_store_dword v2, off, s[68:71], 0 offset:16 ; 4-byte Folded Spill
	buffer_store_dword v3, off, s[68:71], 0 offset:20 ; 4-byte Folded Spill
	v_mul_f64 v[0:1], v[37:38], s[56:57]
	buffer_store_dword v0, off, s[68:71], 0 offset:840 ; 4-byte Folded Spill
	buffer_store_dword v1, off, s[68:71], 0 offset:844 ; 4-byte Folded Spill
	v_fma_f64 v[7:8], v[253:254], s[30:31], v[0:1]
	v_mul_f64 v[0:1], v[35:36], s[52:53]
	buffer_store_dword v0, off, s[68:71], 0 offset:536 ; 4-byte Folded Spill
	buffer_store_dword v1, off, s[68:71], 0 offset:540 ; 4-byte Folded Spill
	v_add_f64 v[7:8], v[251:252], v[7:8]
	v_fma_f64 v[27:28], v[141:142], s[20:21], v[0:1]
	v_mul_f64 v[0:1], v[43:44], s[56:57]
	buffer_store_dword v0, off, s[68:71], 0 offset:864 ; 4-byte Folded Spill
	buffer_store_dword v1, off, s[68:71], 0 offset:868 ; 4-byte Folded Spill
	v_add_f64 v[7:8], v[27:28], v[7:8]
	v_fma_f64 v[27:28], v[25:26], s[30:31], -v[0:1]
	v_mul_f64 v[0:1], v[41:42], s[52:53]
	buffer_store_dword v0, off, s[68:71], 0 offset:520 ; 4-byte Folded Spill
	buffer_store_dword v1, off, s[68:71], 0 offset:524 ; 4-byte Folded Spill
	v_add_f64 v[27:28], v[249:250], v[27:28]
	v_fma_f64 v[29:30], v[161:162], s[20:21], -v[0:1]
	v_mul_f64 v[0:1], v[23:24], s[36:37]
	buffer_store_dword v0, off, s[68:71], 0 offset:544 ; 4-byte Folded Spill
	buffer_store_dword v1, off, s[68:71], 0 offset:548 ; 4-byte Folded Spill
	v_add_f64 v[27:28], v[29:30], v[27:28]
	v_fma_f64 v[29:30], v[145:146], s[18:19], v[0:1]
	v_mul_f64 v[0:1], v[39:40], s[36:37]
	buffer_store_dword v0, off, s[68:71], 0 offset:528 ; 4-byte Folded Spill
	buffer_store_dword v1, off, s[68:71], 0 offset:532 ; 4-byte Folded Spill
	v_add_f64 v[7:8], v[29:30], v[7:8]
	v_fma_f64 v[29:30], v[169:170], s[18:19], -v[0:1]
	v_mul_f64 v[0:1], v[19:20], s[40:41]
	buffer_store_dword v0, off, s[68:71], 0 offset:552 ; 4-byte Folded Spill
	buffer_store_dword v1, off, s[68:71], 0 offset:556 ; 4-byte Folded Spill
	v_add_f64 v[27:28], v[29:30], v[27:28]
	v_fma_f64 v[29:30], v[149:150], s[8:9], v[0:1]
	;; [unrolled: 10-line block ×5, first 2 shown]
	v_mul_f64 v[0:1], v[17:18], s[44:45]
	buffer_store_dword v0, off, s[68:71], 0 offset:488 ; 4-byte Folded Spill
	buffer_store_dword v1, off, s[68:71], 0 offset:492 ; 4-byte Folded Spill
	v_add_f64 v[7:8], v[29:30], v[7:8]
	v_fma_f64 v[29:30], v[189:190], s[6:7], -v[0:1]
	v_mul_f64 v[0:1], v[13:14], s[48:49]
	buffer_store_dword v0, off, s[68:71], 0 offset:480 ; 4-byte Folded Spill
	buffer_store_dword v1, off, s[68:71], 0 offset:484 ; 4-byte Folded Spill
	v_add_f64 v[27:28], v[29:30], v[27:28]
	v_fma_f64 v[29:30], v[175:176], s[4:5], -v[0:1]
	v_mul_f64 v[0:1], v[11:12], s[48:49]
	buffer_store_dword v0, off, s[68:71], 0 offset:472 ; 4-byte Folded Spill
	buffer_store_dword v1, off, s[68:71], 0 offset:476 ; 4-byte Folded Spill
	v_add_f64 v[27:28], v[29:30], v[27:28]
	v_fma_f64 v[29:30], v[191:192], s[4:5], v[0:1]
	v_add_f64 v[7:8], v[29:30], v[7:8]
	v_mul_f64 v[29:30], v[27:28], v[80:81]
	v_mul_f64 v[75:76], v[7:8], v[80:81]
	v_fma_f64 v[2:3], v[7:8], v[105:106], -v[29:30]
	v_fma_f64 v[7:8], v[253:254], s[6:7], v[243:244]
	v_fma_f64 v[0:1], v[27:28], v[105:106], v[75:76]
	buffer_store_dword v0, off, s[68:71], 0 offset:24 ; 4-byte Folded Spill
	buffer_store_dword v1, off, s[68:71], 0 offset:28 ; 4-byte Folded Spill
	;; [unrolled: 1-line block ×4, first 2 shown]
	v_mul_f64 v[0:1], v[35:36], s[36:37]
	buffer_store_dword v0, off, s[68:71], 0 offset:632 ; 4-byte Folded Spill
	buffer_store_dword v1, off, s[68:71], 0 offset:636 ; 4-byte Folded Spill
	v_add_f64 v[7:8], v[251:252], v[7:8]
	v_mul_f64 v[105:106], v[43:44], s[52:53]
	v_fma_f64 v[27:28], v[141:142], s[18:19], v[0:1]
	v_mul_f64 v[0:1], v[41:42], s[36:37]
	buffer_store_dword v0, off, s[68:71], 0 offset:600 ; 4-byte Folded Spill
	buffer_store_dword v1, off, s[68:71], 0 offset:604 ; 4-byte Folded Spill
	v_add_f64 v[7:8], v[27:28], v[7:8]
	v_fma_f64 v[27:28], v[25:26], s[6:7], -v[171:172]
	v_add_f64 v[27:28], v[249:250], v[27:28]
	v_fma_f64 v[29:30], v[161:162], s[18:19], -v[0:1]
	v_mul_f64 v[0:1], v[23:24], s[64:65]
	buffer_store_dword v0, off, s[68:71], 0 offset:640 ; 4-byte Folded Spill
	buffer_store_dword v1, off, s[68:71], 0 offset:644 ; 4-byte Folded Spill
	v_add_f64 v[27:28], v[29:30], v[27:28]
	v_fma_f64 v[29:30], v[145:146], s[8:9], v[0:1]
	v_mul_f64 v[0:1], v[39:40], s[64:65]
	buffer_store_dword v0, off, s[68:71], 0 offset:608 ; 4-byte Folded Spill
	buffer_store_dword v1, off, s[68:71], 0 offset:612 ; 4-byte Folded Spill
	v_add_f64 v[7:8], v[29:30], v[7:8]
	v_fma_f64 v[29:30], v[169:170], s[8:9], -v[0:1]
	v_mul_f64 v[0:1], v[19:20], s[60:61]
	buffer_store_dword v0, off, s[68:71], 0 offset:656 ; 4-byte Folded Spill
	buffer_store_dword v1, off, s[68:71], 0 offset:660 ; 4-byte Folded Spill
	v_add_f64 v[27:28], v[29:30], v[27:28]
	v_fma_f64 v[29:30], v[149:150], s[22:23], v[0:1]
	v_mul_f64 v[0:1], v[33:34], s[60:61]
	buffer_store_dword v0, off, s[68:71], 0 offset:616 ; 4-byte Folded Spill
	buffer_store_dword v1, off, s[68:71], 0 offset:620 ; 4-byte Folded Spill
	;; [unrolled: 10-line block ×5, first 2 shown]
	v_add_f64 v[7:8], v[29:30], v[7:8]
	v_fma_f64 v[29:30], v[189:190], s[20:21], -v[0:1]
	v_mul_f64 v[0:1], v[13:14], s[38:39]
	buffer_store_dword v0, off, s[68:71], 0 offset:680 ; 4-byte Folded Spill
	buffer_store_dword v1, off, s[68:71], 0 offset:684 ; 4-byte Folded Spill
	v_add_f64 v[27:28], v[29:30], v[27:28]
	v_fma_f64 v[29:30], v[175:176], s[16:17], -v[0:1]
	v_mul_f64 v[0:1], v[11:12], s[38:39]
	buffer_store_dword v0, off, s[68:71], 0 offset:688 ; 4-byte Folded Spill
	buffer_store_dword v1, off, s[68:71], 0 offset:692 ; 4-byte Folded Spill
	v_add_f64 v[27:28], v[29:30], v[27:28]
	v_fma_f64 v[29:30], v[191:192], s[16:17], v[0:1]
	v_add_f64 v[7:8], v[29:30], v[7:8]
	v_mul_f64 v[29:30], v[27:28], v[95:96]
	v_mul_f64 v[75:76], v[7:8], v[95:96]
	v_fma_f64 v[2:3], v[7:8], v[85:86], -v[29:30]
	v_fma_f64 v[29:30], v[25:26], s[20:21], -v[105:106]
	v_fma_f64 v[7:8], v[253:254], s[20:21], v[195:196]
	v_fma_f64 v[0:1], v[27:28], v[85:86], v[75:76]
	buffer_store_dword v0, off, s[68:71], 0 offset:40 ; 4-byte Folded Spill
	buffer_store_dword v1, off, s[68:71], 0 offset:44 ; 4-byte Folded Spill
	;; [unrolled: 1-line block ×4, first 2 shown]
	v_mul_f64 v[0:1], v[35:36], s[40:41]
	buffer_store_dword v0, off, s[68:71], 0 offset:744 ; 4-byte Folded Spill
	buffer_store_dword v1, off, s[68:71], 0 offset:748 ; 4-byte Folded Spill
	v_add_f64 v[29:30], v[249:250], v[29:30]
	v_add_f64 v[7:8], v[251:252], v[7:8]
	v_mul_f64 v[35:36], v[35:36], s[48:49]
	v_fma_f64 v[27:28], v[141:142], s[8:9], v[0:1]
	v_mul_f64 v[0:1], v[41:42], s[40:41]
	buffer_store_dword v0, off, s[68:71], 0 offset:728 ; 4-byte Folded Spill
	buffer_store_dword v1, off, s[68:71], 0 offset:732 ; 4-byte Folded Spill
	v_add_f64 v[7:8], v[27:28], v[7:8]
	v_mul_f64 v[27:28], v[43:44], s[36:37]
	v_fma_f64 v[75:76], v[161:162], s[8:9], -v[0:1]
	v_mul_f64 v[0:1], v[23:24], s[60:61]
	buffer_store_dword v0, off, s[68:71], 0 offset:768 ; 4-byte Folded Spill
	buffer_store_dword v1, off, s[68:71], 0 offset:772 ; 4-byte Folded Spill
	v_add_f64 v[29:30], v[75:76], v[29:30]
	v_mul_f64 v[23:24], v[23:24], s[38:39]
	v_fma_f64 v[75:76], v[145:146], s[22:23], v[0:1]
	v_mul_f64 v[0:1], v[39:40], s[60:61]
	buffer_store_dword v0, off, s[68:71], 0 offset:736 ; 4-byte Folded Spill
	buffer_store_dword v1, off, s[68:71], 0 offset:740 ; 4-byte Folded Spill
	v_add_f64 v[7:8], v[75:76], v[7:8]
	v_fma_f64 v[75:76], v[169:170], s[22:23], -v[0:1]
	v_mul_f64 v[0:1], v[19:20], s[48:49]
	buffer_store_dword v0, off, s[68:71], 0 offset:784 ; 4-byte Folded Spill
	buffer_store_dword v1, off, s[68:71], 0 offset:788 ; 4-byte Folded Spill
	v_add_f64 v[29:30], v[75:76], v[29:30]
	v_fma_f64 v[75:76], v[149:150], s[4:5], v[0:1]
	v_mul_f64 v[0:1], v[33:34], s[48:49]
	buffer_store_dword v0, off, s[68:71], 0 offset:752 ; 4-byte Folded Spill
	buffer_store_dword v1, off, s[68:71], 0 offset:756 ; 4-byte Folded Spill
	v_add_f64 v[7:8], v[75:76], v[7:8]
	v_fma_f64 v[75:76], v[173:174], s[4:5], -v[0:1]
	v_mul_f64 v[0:1], v[15:16], s[58:59]
	buffer_store_dword v0, off, s[68:71], 0 offset:800 ; 4-byte Folded Spill
	buffer_store_dword v1, off, s[68:71], 0 offset:804 ; 4-byte Folded Spill
	v_add_f64 v[29:30], v[75:76], v[29:30]
	v_mul_f64 v[15:16], v[15:16], s[36:37]
	v_fma_f64 v[75:76], v[153:154], s[6:7], v[0:1]
	v_mul_f64 v[0:1], v[31:32], s[58:59]
	buffer_store_dword v0, off, s[68:71], 0 offset:760 ; 4-byte Folded Spill
	buffer_store_dword v1, off, s[68:71], 0 offset:764 ; 4-byte Folded Spill
	v_add_f64 v[7:8], v[75:76], v[7:8]
	v_fma_f64 v[75:76], v[181:182], s[6:7], -v[0:1]
	v_mul_f64 v[0:1], v[9:10], s[38:39]
	buffer_store_dword v0, off, s[68:71], 0 offset:824 ; 4-byte Folded Spill
	buffer_store_dword v1, off, s[68:71], 0 offset:828 ; 4-byte Folded Spill
	v_add_f64 v[29:30], v[75:76], v[29:30]
	v_fma_f64 v[75:76], v[157:158], s[16:17], v[0:1]
	v_mul_f64 v[0:1], v[21:22], s[38:39]
	buffer_store_dword v0, off, s[68:71], 0 offset:776 ; 4-byte Folded Spill
	buffer_store_dword v1, off, s[68:71], 0 offset:780 ; 4-byte Folded Spill
	v_add_f64 v[7:8], v[75:76], v[7:8]
	v_fma_f64 v[75:76], v[185:186], s[16:17], -v[0:1]
	v_mul_f64 v[0:1], v[5:6], s[54:55]
	buffer_store_dword v0, off, s[68:71], 0 offset:832 ; 4-byte Folded Spill
	buffer_store_dword v1, off, s[68:71], 0 offset:836 ; 4-byte Folded Spill
	v_add_f64 v[29:30], v[75:76], v[29:30]
	;; [unrolled: 10-line block ×3, first 2 shown]
	v_fma_f64 v[75:76], v[175:176], s[30:31], -v[0:1]
	v_mul_f64 v[0:1], v[11:12], s[46:47]
	buffer_store_dword v0, off, s[68:71], 0 offset:816 ; 4-byte Folded Spill
	buffer_store_dword v1, off, s[68:71], 0 offset:820 ; 4-byte Folded Spill
	v_add_f64 v[29:30], v[75:76], v[29:30]
	v_fma_f64 v[75:76], v[191:192], s[30:31], v[0:1]
	v_add_f64 v[7:8], v[75:76], v[7:8]
	v_mul_f64 v[75:76], v[29:30], v[111:112]
	v_mul_f64 v[79:80], v[7:8], v[111:112]
	v_fma_f64 v[2:3], v[7:8], v[103:104], -v[75:76]
	v_fma_f64 v[75:76], v[141:142], s[16:17], v[245:246]
	v_mul_f64 v[111:112], v[11:12], s[44:45]
	v_mul_f64 v[7:8], v[43:44], s[38:39]
	v_fma_f64 v[0:1], v[29:30], v[103:104], v[79:80]
	buffer_store_dword v0, off, s[68:71], 0 offset:56 ; 4-byte Folded Spill
	buffer_store_dword v1, off, s[68:71], 0 offset:60 ; 4-byte Folded Spill
	;; [unrolled: 1-line block ×4, first 2 shown]
	v_mul_f64 v[0:1], v[41:42], s[62:63]
	buffer_store_dword v0, off, s[68:71], 0 offset:848 ; 4-byte Folded Spill
	buffer_store_dword v1, off, s[68:71], 0 offset:852 ; 4-byte Folded Spill
	v_fma_f64 v[29:30], v[253:254], s[22:23], v[109:110]
	v_mul_f64 v[79:80], v[43:44], s[34:35]
	v_mul_f64 v[103:104], v[37:38], s[36:37]
	v_fma_f64 v[247:248], v[191:192], s[6:7], v[111:112]
	v_mul_f64 v[43:44], v[43:44], s[40:41]
	v_add_f64 v[29:30], v[251:252], v[29:30]
	v_add_f64 v[29:30], v[75:76], v[29:30]
	v_fma_f64 v[75:76], v[25:26], s[22:23], -v[79:80]
	v_add_f64 v[75:76], v[249:250], v[75:76]
	v_fma_f64 v[84:85], v[161:162], s[16:17], -v[0:1]
	v_mul_f64 v[0:1], v[39:40], s[46:47]
	buffer_store_dword v0, off, s[68:71], 0 offset:856 ; 4-byte Folded Spill
	buffer_store_dword v1, off, s[68:71], 0 offset:860 ; 4-byte Folded Spill
	v_add_f64 v[75:76], v[84:85], v[75:76]
	v_fma_f64 v[84:85], v[145:146], s[30:31], v[233:234]
	v_add_f64 v[29:30], v[84:85], v[29:30]
	v_fma_f64 v[84:85], v[169:170], s[30:31], -v[0:1]
	v_add_f64 v[75:76], v[84:85], v[75:76]
	v_fma_f64 v[84:85], v[149:150], s[6:7], v[229:230]
	v_add_f64 v[29:30], v[84:85], v[29:30]
	v_fma_f64 v[84:85], v[173:174], s[6:7], -v[241:242]
	;; [unrolled: 4-line block ×5, first 2 shown]
	v_add_f64 v[75:76], v[84:85], v[75:76]
	v_fma_f64 v[84:85], v[175:176], s[18:19], -v[225:226]
	v_add_f64 v[75:76], v[84:85], v[75:76]
	v_fma_f64 v[84:85], v[191:192], s[18:19], v[221:222]
	v_add_f64 v[29:30], v[84:85], v[29:30]
	v_mul_f64 v[84:85], v[75:76], v[73:74]
	v_mul_f64 v[73:74], v[29:30], v[73:74]
	v_fma_f64 v[2:3], v[29:30], v[107:108], -v[84:85]
	v_fma_f64 v[84:85], v[161:162], s[22:23], -v[155:156]
	v_mul_f64 v[29:30], v[11:12], s[34:35]
	v_mul_f64 v[11:12], v[11:12], s[42:43]
	v_fma_f64 v[0:1], v[75:76], v[107:108], v[73:74]
	v_fma_f64 v[73:74], v[253:254], s[18:19], v[103:104]
	;; [unrolled: 1-line block ×3, first 2 shown]
	v_mul_f64 v[107:108], v[9:10], s[56:57]
	buffer_store_dword v0, off, s[68:71], 0 offset:72 ; 4-byte Folded Spill
	buffer_store_dword v1, off, s[68:71], 0 offset:76 ; 4-byte Folded Spill
	;; [unrolled: 1-line block ×4, first 2 shown]
	v_add_f64 v[73:74], v[251:252], v[73:74]
	v_fma_f64 v[2:3], v[175:176], s[6:7], -v[113:114]
	v_fma_f64 v[95:96], v[157:158], s[30:31], v[107:108]
	v_add_f64 v[73:74], v[75:76], v[73:74]
	v_fma_f64 v[75:76], v[25:26], s[18:19], -v[27:28]
	v_add_f64 v[75:76], v[249:250], v[75:76]
	v_add_f64 v[75:76], v[84:85], v[75:76]
	v_fma_f64 v[84:85], v[145:146], s[4:5], v[133:134]
	v_add_f64 v[73:74], v[84:85], v[73:74]
	v_fma_f64 v[84:85], v[169:170], s[4:5], -v[147:148]
	v_add_f64 v[75:76], v[84:85], v[75:76]
	v_fma_f64 v[84:85], v[149:150], s[16:17], v[129:130]
	v_add_f64 v[73:74], v[84:85], v[73:74]
	v_fma_f64 v[84:85], v[173:174], s[16:17], -v[135:136]
	v_add_f64 v[90:91], v[84:85], v[75:76]
	v_fma_f64 v[75:76], v[153:154], s[20:21], v[117:118]
	v_mul_f64 v[85:86], v[31:32], s[50:51]
	v_mul_f64 v[31:32], v[31:32], s[36:37]
	v_add_f64 v[73:74], v[75:76], v[73:74]
	v_add_f64 v[73:74], v[95:96], v[73:74]
	v_fma_f64 v[95:96], v[163:164], s[8:9], v[211:212]
	v_add_f64 v[0:1], v[95:96], v[73:74]
	v_fma_f64 v[73:74], v[181:182], s[20:21], -v[127:128]
	v_mul_f64 v[95:96], v[9:10], s[40:41]
	v_mul_f64 v[9:10], v[9:10], s[44:45]
	v_add_f64 v[0:1], v[247:248], v[0:1]
	v_add_f64 v[73:74], v[73:74], v[90:91]
	v_fma_f64 v[90:91], v[185:186], s[30:31], -v[125:126]
	v_add_f64 v[73:74], v[90:91], v[73:74]
	v_fma_f64 v[90:91], v[189:190], s[8:9], -v[119:120]
	v_add_f64 v[73:74], v[90:91], v[73:74]
	v_mul_f64 v[91:92], v[41:42], s[44:45]
	v_mul_f64 v[41:42], v[41:42], s[48:49]
	v_add_f64 v[2:3], v[2:3], v[73:74]
	v_mul_f64 v[247:248], v[2:3], v[77:78]
	v_mul_f64 v[77:78], v[0:1], v[77:78]
	v_fma_f64 v[75:76], v[0:1], v[82:83], -v[247:248]
	v_fma_f64 v[73:74], v[2:3], v[82:83], v[77:78]
	v_mul_f64 v[77:78], v[37:38], s[38:39]
	v_mul_f64 v[0:1], v[88:89], v[207:208]
	;; [unrolled: 1-line block ×4, first 2 shown]
	v_fma_f64 v[207:208], v[161:162], s[6:7], -v[91:92]
	v_mul_f64 v[83:84], v[21:22], s[40:41]
	buffer_store_dword v73, off, s[68:71], 0 offset:104 ; 4-byte Folded Spill
	buffer_store_dword v74, off, s[68:71], 0 offset:108 ; 4-byte Folded Spill
	;; [unrolled: 1-line block ×4, first 2 shown]
	v_fma_f64 v[81:82], v[253:254], s[16:17], v[77:78]
	v_fma_f64 v[0:1], v[205:206], v[93:94], -v[0:1]
	v_fma_f64 v[93:94], v[141:142], s[6:7], v[101:102]
	v_fma_f64 v[2:3], v[205:206], v[88:89], v[2:3]
	;; [unrolled: 1-line block ×3, first 2 shown]
	v_mul_f64 v[89:90], v[39:40], s[52:53]
	v_mul_f64 v[87:88], v[33:34], s[54:55]
	;; [unrolled: 1-line block ×11, first 2 shown]
	v_add_f64 v[81:82], v[251:252], v[81:82]
	v_add_f64 v[81:82], v[93:94], v[81:82]
	v_mul_f64 v[93:94], v[5:6], s[46:47]
	v_mul_f64 v[4:5], v[5:6], s[34:35]
	v_add_f64 v[81:82], v[205:206], v[81:82]
	v_fma_f64 v[205:206], v[149:150], s[18:19], v[247:248]
	v_add_f64 v[81:82], v[205:206], v[81:82]
	v_fma_f64 v[205:206], v[153:154], s[4:5], v[97:98]
	;; [unrolled: 2-line block ×4, first 2 shown]
	v_add_f64 v[81:82], v[205:206], v[81:82]
	v_fma_f64 v[205:206], v[25:26], s[16:17], -v[7:8]
	v_add_f64 v[205:206], v[249:250], v[205:206]
	v_add_f64 v[205:206], v[207:208], v[205:206]
	v_fma_f64 v[207:208], v[169:170], s[20:21], -v[89:90]
	v_add_f64 v[205:206], v[207:208], v[205:206]
	v_fma_f64 v[207:208], v[173:174], s[18:19], -v[87:88]
	;; [unrolled: 2-line block ×6, first 2 shown]
	v_add_f64 v[205:206], v[207:208], v[205:206]
	v_fma_f64 v[207:208], v[191:192], s[22:23], v[29:30]
	v_fma_f64 v[29:30], v[191:192], s[22:23], -v[29:30]
	v_add_f64 v[81:82], v[207:208], v[81:82]
	v_mul_f64 v[207:208], v[205:206], v[2:3]
	v_mul_f64 v[2:3], v[81:82], v[2:3]
	v_fma_f64 v[207:208], v[81:82], v[0:1], -v[207:208]
	v_fma_f64 v[81:82], v[253:254], s[8:9], v[37:38]
	v_fma_f64 v[37:38], v[253:254], s[8:9], -v[37:38]
	v_fma_f64 v[205:206], v[205:206], v[0:1], v[2:3]
	v_mul_f64 v[2:3], v[121:122], v[167:168]
	v_mul_f64 v[0:1], v[115:116], v[167:168]
	v_add_f64 v[81:82], v[251:252], v[81:82]
	v_add_f64 v[37:38], v[251:252], v[37:38]
	v_fma_f64 v[2:3], v[165:166], v[115:116], v[2:3]
	v_fma_f64 v[115:116], v[141:142], s[4:5], v[35:36]
	v_fma_f64 v[35:36], v[141:142], s[4:5], -v[35:36]
	v_fma_f64 v[0:1], v[165:166], v[121:122], -v[0:1]
	;; [unrolled: 1-line block ×3, first 2 shown]
	v_add_f64 v[81:82], v[115:116], v[81:82]
	v_fma_f64 v[115:116], v[145:146], s[16:17], v[23:24]
	v_add_f64 v[35:36], v[35:36], v[37:38]
	v_fma_f64 v[23:24], v[145:146], s[16:17], -v[23:24]
	v_add_f64 v[81:82], v[115:116], v[81:82]
	v_fma_f64 v[115:116], v[149:150], s[30:31], v[19:20]
	v_add_f64 v[23:24], v[23:24], v[35:36]
	v_fma_f64 v[19:20], v[149:150], s[30:31], -v[19:20]
	v_add_f64 v[81:82], v[115:116], v[81:82]
	v_fma_f64 v[115:116], v[153:154], s[18:19], v[15:16]
	v_add_f64 v[19:20], v[19:20], v[23:24]
	v_fma_f64 v[15:16], v[153:154], s[18:19], -v[15:16]
	v_fma_f64 v[23:24], v[253:254], s[18:19], -v[103:104]
	v_add_f64 v[81:82], v[115:116], v[81:82]
	v_fma_f64 v[115:116], v[157:158], s[6:7], v[9:10]
	v_add_f64 v[15:16], v[15:16], v[19:20]
	v_fma_f64 v[9:10], v[157:158], s[6:7], -v[9:10]
	v_add_f64 v[23:24], v[251:252], v[23:24]
	v_add_f64 v[81:82], v[115:116], v[81:82]
	v_fma_f64 v[115:116], v[163:164], s[22:23], v[4:5]
	v_add_f64 v[9:10], v[9:10], v[15:16]
	v_fma_f64 v[4:5], v[163:164], s[22:23], -v[4:5]
	v_fma_f64 v[15:16], v[161:162], s[4:5], v[41:42]
	v_add_f64 v[81:82], v[115:116], v[81:82]
	v_fma_f64 v[115:116], v[25:26], s[8:9], -v[43:44]
	v_add_f64 v[4:5], v[4:5], v[9:10]
	v_fma_f64 v[9:10], v[25:26], s[8:9], v[43:44]
	v_add_f64 v[115:116], v[249:250], v[115:116]
	v_add_f64 v[9:10], v[249:250], v[9:10]
	;; [unrolled: 1-line block ×3, first 2 shown]
	v_fma_f64 v[121:122], v[169:170], s[16:17], -v[39:40]
	v_add_f64 v[9:10], v[15:16], v[9:10]
	v_fma_f64 v[15:16], v[169:170], s[16:17], v[39:40]
	v_add_f64 v[115:116], v[121:122], v[115:116]
	v_fma_f64 v[121:122], v[173:174], s[30:31], -v[33:34]
	v_add_f64 v[9:10], v[15:16], v[9:10]
	v_fma_f64 v[15:16], v[173:174], s[30:31], v[33:34]
	v_add_f64 v[115:116], v[121:122], v[115:116]
	v_fma_f64 v[121:122], v[181:182], s[18:19], -v[31:32]
	v_add_f64 v[9:10], v[15:16], v[9:10]
	v_fma_f64 v[15:16], v[181:182], s[18:19], v[31:32]
	v_fma_f64 v[31:32], v[253:254], s[6:7], -v[243:244]
	v_add_f64 v[115:116], v[121:122], v[115:116]
	v_fma_f64 v[121:122], v[185:186], s[6:7], -v[21:22]
	v_add_f64 v[9:10], v[15:16], v[9:10]
	v_fma_f64 v[15:16], v[185:186], s[6:7], v[21:22]
	v_fma_f64 v[21:22], v[253:254], s[16:17], -v[77:78]
	v_add_f64 v[31:32], v[251:252], v[31:32]
	v_add_f64 v[115:116], v[121:122], v[115:116]
	v_fma_f64 v[121:122], v[189:190], s[22:23], -v[17:18]
	v_add_f64 v[9:10], v[15:16], v[9:10]
	v_fma_f64 v[15:16], v[189:190], s[22:23], v[17:18]
	v_add_f64 v[21:22], v[251:252], v[21:22]
	s_clause 0x7
	buffer_load_dword v17, off, s[68:71], 0 offset:864
	buffer_load_dword v18, off, s[68:71], 0 offset:868
	;; [unrolled: 1-line block ×8, first 2 shown]
	v_add_f64 v[115:116], v[121:122], v[115:116]
	v_fma_f64 v[121:122], v[175:176], s[20:21], -v[13:14]
	v_add_f64 v[9:10], v[15:16], v[9:10]
	v_fma_f64 v[13:14], v[175:176], s[20:21], v[13:14]
	v_fma_f64 v[15:16], v[25:26], s[6:7], v[171:172]
	v_add_f64 v[115:116], v[121:122], v[115:116]
	v_fma_f64 v[121:122], v[191:192], s[20:21], v[11:12]
	v_fma_f64 v[11:12], v[191:192], s[20:21], -v[11:12]
	v_add_f64 v[9:10], v[13:14], v[9:10]
	v_fma_f64 v[13:14], v[25:26], s[20:21], v[105:106]
	v_add_f64 v[15:16], v[249:250], v[15:16]
	v_add_f64 v[81:82], v[121:122], v[81:82]
	v_mul_f64 v[121:122], v[115:116], v[2:3]
	v_add_f64 v[4:5], v[11:12], v[4:5]
	v_add_f64 v[13:14], v[249:250], v[13:14]
	v_mul_f64 v[2:3], v[81:82], v[2:3]
	v_fma_f64 v[167:168], v[81:82], v[0:1], -v[121:122]
	v_fma_f64 v[165:166], v[115:116], v[0:1], v[2:3]
	v_mul_f64 v[2:3], v[187:188], v[215:216]
	v_mul_f64 v[0:1], v[183:184], v[215:216]
	v_fma_f64 v[2:3], v[213:214], v[183:184], v[2:3]
	v_fma_f64 v[0:1], v[213:214], v[187:188], -v[0:1]
	v_mul_f64 v[11:12], v[9:10], v[2:3]
	v_mul_f64 v[2:3], v[4:5], v[2:3]
	v_fma_f64 v[43:44], v[4:5], v[0:1], -v[11:12]
	v_fma_f64 v[41:42], v[9:10], v[0:1], v[2:3]
	v_mul_f64 v[0:1], v[203:204], v[47:48]
	v_fma_f64 v[2:3], v[25:26], s[18:19], v[27:28]
	v_fma_f64 v[27:28], v[253:254], s[20:21], -v[195:196]
	v_fma_f64 v[37:38], v[45:46], v[209:210], -v[0:1]
	v_mul_f64 v[0:1], v[209:210], v[47:48]
	v_add_f64 v[2:3], v[249:250], v[2:3]
	v_add_f64 v[27:28], v[251:252], v[27:28]
	v_fma_f64 v[45:46], v[45:46], v[203:204], v[0:1]
	v_mul_f64 v[0:1], v[201:202], v[55:56]
	v_fma_f64 v[5:6], v[53:54], v[199:200], v[0:1]
	v_mul_f64 v[0:1], v[199:200], v[55:56]
	v_fma_f64 v[39:40], v[53:54], v[201:202], -v[0:1]
	v_mul_f64 v[0:1], v[197:198], v[51:52]
	v_fma_f64 v[11:12], v[49:50], v[193:194], v[0:1]
	v_mul_f64 v[0:1], v[193:194], v[51:52]
	v_fma_f64 v[47:48], v[49:50], v[197:198], -v[0:1]
	v_mul_f64 v[0:1], v[179:180], v[63:64]
	s_waitcnt vmcnt(6)
	v_fma_f64 v[17:18], v[25:26], s[30:31], v[17:18]
	s_waitcnt vmcnt(4)
	v_fma_f64 v[19:20], v[25:26], s[4:5], v[19:20]
	s_waitcnt vmcnt(2)
	v_fma_f64 v[33:34], v[253:254], s[30:31], -v[33:34]
	s_waitcnt vmcnt(0)
	v_fma_f64 v[35:36], v[253:254], s[4:5], -v[35:36]
	v_fma_f64 v[9:10], v[61:62], v[177:178], v[0:1]
	v_mul_f64 v[0:1], v[177:178], v[63:64]
	s_clause 0x1
	buffer_load_dword v63, off, s[68:71], 0 offset:592
	buffer_load_dword v64, off, s[68:71], 0 offset:596
	v_add_f64 v[17:18], v[249:250], v[17:18]
	v_add_f64 v[19:20], v[249:250], v[19:20]
	;; [unrolled: 1-line block ×4, first 2 shown]
	v_fma_f64 v[49:50], v[61:62], v[179:180], -v[0:1]
	v_mul_f64 v[0:1], v[159:160], v[59:60]
	v_fma_f64 v[61:62], v[57:58], v[151:152], v[0:1]
	v_mul_f64 v[0:1], v[151:152], v[59:60]
	v_fma_f64 v[51:52], v[57:58], v[159:160], -v[0:1]
	v_mul_f64 v[0:1], v[143:144], v[71:72]
	v_fma_f64 v[53:54], v[69:70], v[139:140], v[0:1]
	v_mul_f64 v[0:1], v[139:140], v[71:72]
	;; [unrolled: 4-line block ×3, first 2 shown]
	v_fma_f64 v[67:68], v[141:142], s[6:7], -v[101:102]
	v_fma_f64 v[59:60], v[65:66], v[131:132], -v[0:1]
	v_add_f64 v[21:22], v[67:68], v[21:22]
	v_fma_f64 v[67:68], v[145:146], s[20:21], -v[99:100]
	v_fma_f64 v[0:1], v[25:26], s[16:17], v[7:8]
	v_fma_f64 v[7:8], v[25:26], s[22:23], v[79:80]
	v_fma_f64 v[25:26], v[253:254], s[22:23], -v[109:110]
	s_clause 0x1
	buffer_load_dword v65, off, s[68:71], 0 offset:584
	buffer_load_dword v66, off, s[68:71], 0 offset:588
	v_add_f64 v[21:22], v[67:68], v[21:22]
	v_fma_f64 v[67:68], v[149:150], s[18:19], -v[247:248]
	v_add_f64 v[7:8], v[249:250], v[7:8]
	v_add_f64 v[25:26], v[251:252], v[25:26]
	;; [unrolled: 1-line block ×4, first 2 shown]
	v_fma_f64 v[67:68], v[153:154], s[4:5], -v[97:98]
	v_add_f64 v[21:22], v[67:68], v[21:22]
	v_fma_f64 v[67:68], v[157:158], s[8:9], -v[95:96]
	v_add_f64 v[21:22], v[67:68], v[21:22]
	;; [unrolled: 2-line block ×3, first 2 shown]
	v_fma_f64 v[67:68], v[161:162], s[6:7], v[91:92]
	v_add_f64 v[21:22], v[29:30], v[21:22]
	v_fma_f64 v[29:30], v[141:142], s[22:23], -v[137:138]
	v_add_f64 v[0:1], v[67:68], v[0:1]
	v_fma_f64 v[67:68], v[169:170], s[20:21], v[89:90]
	v_add_f64 v[23:24], v[29:30], v[23:24]
	v_fma_f64 v[29:30], v[145:146], s[4:5], -v[133:134]
	v_add_f64 v[0:1], v[67:68], v[0:1]
	v_fma_f64 v[67:68], v[173:174], s[18:19], v[87:88]
	s_waitcnt vmcnt(2)
	v_add_f64 v[63:64], v[249:250], v[63:64]
	v_add_f64 v[23:24], v[29:30], v[23:24]
	v_fma_f64 v[29:30], v[149:150], s[16:17], -v[129:130]
	v_add_f64 v[0:1], v[67:68], v[0:1]
	v_fma_f64 v[67:68], v[181:182], s[4:5], v[85:86]
	v_add_f64 v[23:24], v[29:30], v[23:24]
	v_fma_f64 v[29:30], v[153:154], s[20:21], -v[117:118]
	v_add_f64 v[0:1], v[67:68], v[0:1]
	v_fma_f64 v[67:68], v[185:186], s[8:9], v[83:84]
	;; [unrolled: 4-line block ×4, first 2 shown]
	v_add_f64 v[23:24], v[29:30], v[23:24]
	v_fma_f64 v[29:30], v[161:162], s[22:23], v[155:156]
	v_add_f64 v[0:1], v[67:68], v[0:1]
	v_add_f64 v[2:3], v[29:30], v[2:3]
	v_fma_f64 v[29:30], v[169:170], s[4:5], v[147:148]
	v_add_f64 v[2:3], v[29:30], v[2:3]
	v_fma_f64 v[29:30], v[173:174], s[16:17], v[135:136]
	s_waitcnt vmcnt(0)
	v_add_f64 v[65:66], v[251:252], v[65:66]
	v_add_f64 v[2:3], v[29:30], v[2:3]
	v_fma_f64 v[29:30], v[181:182], s[20:21], v[127:128]
	v_add_f64 v[2:3], v[29:30], v[2:3]
	v_fma_f64 v[29:30], v[185:186], s[30:31], v[125:126]
	;; [unrolled: 2-line block ×4, first 2 shown]
	v_add_f64 v[29:30], v[29:30], v[2:3]
	v_fma_f64 v[2:3], v[191:192], s[6:7], -v[111:112]
	v_add_f64 v[23:24], v[2:3], v[23:24]
	v_fma_f64 v[2:3], v[141:142], s[16:17], -v[245:246]
	;; [unrolled: 2-line block ×7, first 2 shown]
	v_add_f64 v[2:3], v[25:26], v[2:3]
	s_clause 0x1
	buffer_load_dword v25, off, s[68:71], 0 offset:848
	buffer_load_dword v26, off, s[68:71], 0 offset:852
	s_waitcnt vmcnt(0)
	v_fma_f64 v[25:26], v[161:162], s[16:17], v[25:26]
	v_add_f64 v[7:8], v[25:26], v[7:8]
	s_clause 0x1
	buffer_load_dword v25, off, s[68:71], 0 offset:856
	buffer_load_dword v26, off, s[68:71], 0 offset:860
	s_waitcnt vmcnt(0)
	v_fma_f64 v[25:26], v[169:170], s[30:31], v[25:26]
	v_add_f64 v[7:8], v[25:26], v[7:8]
	v_fma_f64 v[25:26], v[173:174], s[6:7], v[241:242]
	v_add_f64 v[7:8], v[25:26], v[7:8]
	;; [unrolled: 2-line block ×6, first 2 shown]
	v_fma_f64 v[7:8], v[191:192], s[18:19], -v[221:222]
	v_add_f64 v[67:68], v[7:8], v[2:3]
	s_clause 0x3
	buffer_load_dword v2, off, s[68:71], 0 offset:744
	buffer_load_dword v3, off, s[68:71], 0 offset:748
	;; [unrolled: 1-line block ×4, first 2 shown]
	v_mul_f64 v[83:84], v[67:68], v[11:12]
	s_waitcnt vmcnt(2)
	v_fma_f64 v[2:3], v[141:142], s[8:9], -v[2:3]
	s_waitcnt vmcnt(0)
	v_fma_f64 v[7:8], v[145:146], s[22:23], -v[7:8]
	v_add_f64 v[2:3], v[2:3], v[27:28]
	v_add_f64 v[2:3], v[7:8], v[2:3]
	s_clause 0x1
	buffer_load_dword v7, off, s[68:71], 0 offset:784
	buffer_load_dword v8, off, s[68:71], 0 offset:788
	s_waitcnt vmcnt(0)
	v_fma_f64 v[7:8], v[149:150], s[4:5], -v[7:8]
	v_add_f64 v[2:3], v[7:8], v[2:3]
	s_clause 0x1
	buffer_load_dword v7, off, s[68:71], 0 offset:800
	buffer_load_dword v8, off, s[68:71], 0 offset:804
	s_waitcnt vmcnt(0)
	v_fma_f64 v[7:8], v[153:154], s[6:7], -v[7:8]
	;; [unrolled: 6-line block ×4, first 2 shown]
	v_add_f64 v[2:3], v[7:8], v[2:3]
	s_clause 0x1
	buffer_load_dword v7, off, s[68:71], 0 offset:728
	buffer_load_dword v8, off, s[68:71], 0 offset:732
	s_waitcnt vmcnt(0)
	v_fma_f64 v[7:8], v[161:162], s[8:9], v[7:8]
	v_add_f64 v[7:8], v[7:8], v[13:14]
	s_clause 0x1
	buffer_load_dword v13, off, s[68:71], 0 offset:736
	buffer_load_dword v14, off, s[68:71], 0 offset:740
	s_waitcnt vmcnt(0)
	v_fma_f64 v[13:14], v[169:170], s[22:23], v[13:14]
	;; [unrolled: 6-line block ×7, first 2 shown]
	v_add_f64 v[13:14], v[13:14], v[7:8]
	s_clause 0x1
	buffer_load_dword v7, off, s[68:71], 0 offset:816
	buffer_load_dword v8, off, s[68:71], 0 offset:820
	v_mul_f64 v[85:86], v[13:14], v[9:10]
	s_waitcnt vmcnt(0)
	v_fma_f64 v[7:8], v[191:192], s[30:31], -v[7:8]
	v_add_f64 v[27:28], v[7:8], v[2:3]
	s_clause 0x3
	buffer_load_dword v2, off, s[68:71], 0 offset:632
	buffer_load_dword v3, off, s[68:71], 0 offset:636
	;; [unrolled: 1-line block ×4, first 2 shown]
	s_waitcnt vmcnt(2)
	v_fma_f64 v[2:3], v[141:142], s[18:19], -v[2:3]
	s_waitcnt vmcnt(0)
	v_fma_f64 v[7:8], v[145:146], s[8:9], -v[7:8]
	v_add_f64 v[2:3], v[2:3], v[31:32]
	v_add_f64 v[2:3], v[7:8], v[2:3]
	s_clause 0x1
	buffer_load_dword v7, off, s[68:71], 0 offset:656
	buffer_load_dword v8, off, s[68:71], 0 offset:660
	s_waitcnt vmcnt(0)
	v_fma_f64 v[7:8], v[149:150], s[22:23], -v[7:8]
	v_add_f64 v[2:3], v[7:8], v[2:3]
	s_clause 0x1
	buffer_load_dword v7, off, s[68:71], 0 offset:672
	buffer_load_dword v8, off, s[68:71], 0 offset:676
	s_waitcnt vmcnt(0)
	v_fma_f64 v[7:8], v[153:154], s[30:31], -v[7:8]
	v_add_f64 v[2:3], v[7:8], v[2:3]
	s_clause 0x1
	buffer_load_dword v7, off, s[68:71], 0 offset:696
	buffer_load_dword v8, off, s[68:71], 0 offset:700
	s_waitcnt vmcnt(0)
	v_fma_f64 v[7:8], v[157:158], s[4:5], -v[7:8]
	v_add_f64 v[2:3], v[7:8], v[2:3]
	s_clause 0x1
	buffer_load_dword v7, off, s[68:71], 0 offset:704
	buffer_load_dword v8, off, s[68:71], 0 offset:708
	s_waitcnt vmcnt(0)
	v_fma_f64 v[7:8], v[163:164], s[20:21], -v[7:8]
	v_add_f64 v[2:3], v[7:8], v[2:3]
	s_clause 0x1
	buffer_load_dword v7, off, s[68:71], 0 offset:600
	buffer_load_dword v8, off, s[68:71], 0 offset:604
	s_waitcnt vmcnt(0)
	v_fma_f64 v[7:8], v[161:162], s[18:19], v[7:8]
	v_add_f64 v[7:8], v[7:8], v[15:16]
	s_clause 0x1
	buffer_load_dword v15, off, s[68:71], 0 offset:608
	buffer_load_dword v16, off, s[68:71], 0 offset:612
	s_waitcnt vmcnt(0)
	v_fma_f64 v[15:16], v[169:170], s[8:9], v[15:16]
	;; [unrolled: 6-line block ×7, first 2 shown]
	v_add_f64 v[31:32], v[15:16], v[7:8]
	s_clause 0x1
	buffer_load_dword v7, off, s[68:71], 0 offset:688
	buffer_load_dword v8, off, s[68:71], 0 offset:692
	s_waitcnt vmcnt(0)
	v_fma_f64 v[7:8], v[191:192], s[16:17], -v[7:8]
	v_add_f64 v[69:70], v[7:8], v[2:3]
	s_clause 0x5
	buffer_load_dword v2, off, s[68:71], 0 offset:336
	buffer_load_dword v3, off, s[68:71], 0 offset:340
	;; [unrolled: 1-line block ×6, first 2 shown]
	s_waitcnt vmcnt(4)
	v_add_f64 v[2:3], v[63:64], v[2:3]
	s_waitcnt vmcnt(2)
	v_fma_f64 v[7:8], v[141:142], s[20:21], -v[7:8]
	s_waitcnt vmcnt(0)
	v_add_f64 v[15:16], v[65:66], v[15:16]
	v_add_f64 v[7:8], v[7:8], v[33:34]
	s_clause 0x1
	buffer_load_dword v33, off, s[68:71], 0 offset:352
	buffer_load_dword v34, off, s[68:71], 0 offset:356
	s_waitcnt vmcnt(0)
	v_add_f64 v[2:3], v[2:3], v[33:34]
	s_clause 0x1
	buffer_load_dword v33, off, s[68:71], 0 offset:544
	buffer_load_dword v34, off, s[68:71], 0 offset:548
	s_waitcnt vmcnt(0)
	v_fma_f64 v[33:34], v[145:146], s[18:19], -v[33:34]
	v_add_f64 v[7:8], v[33:34], v[7:8]
	s_clause 0x1
	buffer_load_dword v33, off, s[68:71], 0 offset:344
	buffer_load_dword v34, off, s[68:71], 0 offset:348
	s_waitcnt vmcnt(0)
	v_add_f64 v[15:16], v[15:16], v[33:34]
	s_clause 0x1
	buffer_load_dword v33, off, s[68:71], 0 offset:376
	buffer_load_dword v34, off, s[68:71], 0 offset:380
	s_waitcnt vmcnt(0)
	v_add_f64 v[2:3], v[2:3], v[33:34]
	s_clause 0x1
	buffer_load_dword v33, off, s[68:71], 0 offset:552
	buffer_load_dword v34, off, s[68:71], 0 offset:556
	s_waitcnt vmcnt(0)
	v_fma_f64 v[33:34], v[149:150], s[8:9], -v[33:34]
	v_add_f64 v[7:8], v[33:34], v[7:8]
	s_clause 0x1
	buffer_load_dword v33, off, s[68:71], 0 offset:368
	buffer_load_dword v34, off, s[68:71], 0 offset:372
	s_waitcnt vmcnt(0)
	;; [unrolled: 16-line block ×5, first 2 shown]
	v_add_f64 v[7:8], v[15:16], v[7:8]
	s_clause 0x1
	buffer_load_dword v15, off, s[68:71], 0 offset:464
	buffer_load_dword v16, off, s[68:71], 0 offset:468
	s_waitcnt vmcnt(0)
	v_add_f64 v[2:3], v[2:3], v[15:16]
	s_clause 0x1
	buffer_load_dword v15, off, s[68:71], 0 offset:520
	buffer_load_dword v16, off, s[68:71], 0 offset:524
	s_waitcnt vmcnt(0)
	v_fma_f64 v[15:16], v[161:162], s[20:21], v[15:16]
	v_add_f64 v[15:16], v[15:16], v[17:18]
	s_clause 0x3
	buffer_load_dword v17, off, s[68:71], 0 offset:232
	buffer_load_dword v18, off, s[68:71], 0 offset:236
	;; [unrolled: 1-line block ×4, first 2 shown]
	s_waitcnt vmcnt(2)
	v_fma_f64 v[17:18], v[161:162], s[30:31], v[17:18]
	s_waitcnt vmcnt(0)
	v_add_f64 v[7:8], v[7:8], v[63:64]
	s_clause 0x1
	buffer_load_dword v63, off, s[68:71], 0 offset:440
	buffer_load_dword v64, off, s[68:71], 0 offset:444
	v_add_f64 v[17:18], v[17:18], v[19:20]
	s_waitcnt vmcnt(0)
	v_add_f64 v[2:3], v[2:3], v[63:64]
	s_clause 0x1
	buffer_load_dword v63, off, s[68:71], 0 offset:528
	buffer_load_dword v64, off, s[68:71], 0 offset:532
	s_waitcnt vmcnt(0)
	v_fma_f64 v[63:64], v[169:170], s[18:19], v[63:64]
	v_add_f64 v[15:16], v[63:64], v[15:16]
	s_clause 0x5
	buffer_load_dword v63, off, s[68:71], 0 offset:184
	buffer_load_dword v64, off, s[68:71], 0 offset:188
	buffer_load_dword v65, off, s[68:71], 0 offset:256
	buffer_load_dword v66, off, s[68:71], 0 offset:260
	buffer_load_dword v19, off, s[68:71], 0 offset:424
	buffer_load_dword v20, off, s[68:71], 0 offset:428
	s_waitcnt vmcnt(4)
	v_fma_f64 v[63:64], v[141:142], s[30:31], -v[63:64]
	s_waitcnt vmcnt(2)
	v_fma_f64 v[65:66], v[169:170], s[6:7], v[65:66]
	s_waitcnt vmcnt(0)
	v_add_f64 v[7:8], v[7:8], v[19:20]
	s_clause 0x1
	buffer_load_dword v19, off, s[68:71], 0 offset:392
	buffer_load_dword v20, off, s[68:71], 0 offset:396
	v_add_f64 v[35:36], v[63:64], v[35:36]
	v_add_f64 v[17:18], v[65:66], v[17:18]
	s_waitcnt vmcnt(0)
	v_add_f64 v[2:3], v[2:3], v[19:20]
	s_clause 0x1
	buffer_load_dword v19, off, s[68:71], 0 offset:512
	buffer_load_dword v20, off, s[68:71], 0 offset:516
	s_waitcnt vmcnt(0)
	v_fma_f64 v[19:20], v[173:174], s[8:9], v[19:20]
	v_add_f64 v[15:16], v[19:20], v[15:16]
	s_clause 0x5
	buffer_load_dword v19, off, s[68:71], 0 offset:192
	buffer_load_dword v20, off, s[68:71], 0 offset:196
	buffer_load_dword v63, off, s[68:71], 0 offset:264
	buffer_load_dword v64, off, s[68:71], 0 offset:268
	buffer_load_dword v65, off, s[68:71], 0 offset:360
	buffer_load_dword v66, off, s[68:71], 0 offset:364
	s_waitcnt vmcnt(4)
	v_fma_f64 v[19:20], v[145:146], s[6:7], -v[19:20]
	s_waitcnt vmcnt(2)
	v_fma_f64 v[63:64], v[173:174], s[20:21], v[63:64]
	s_waitcnt vmcnt(0)
	v_add_f64 v[7:8], v[7:8], v[65:66]
	s_clause 0x1
	buffer_load_dword v65, off, s[68:71], 0 offset:328
	buffer_load_dword v66, off, s[68:71], 0 offset:332
	v_add_f64 v[19:20], v[19:20], v[35:36]
	;; [unrolled: 26-line block ×5, first 2 shown]
	v_add_f64 v[17:18], v[63:64], v[17:18]
	s_waitcnt vmcnt(0)
	v_add_f64 v[2:3], v[2:3], v[65:66]
	s_clause 0x1
	buffer_load_dword v65, off, s[68:71], 0 offset:480
	buffer_load_dword v66, off, s[68:71], 0 offset:484
	s_waitcnt vmcnt(0)
	v_fma_f64 v[65:66], v[175:176], s[4:5], v[65:66]
	v_add_f64 v[65:66], v[65:66], v[15:16]
	s_clause 0x9
	buffer_load_dword v15, off, s[68:71], 0 offset:240
	buffer_load_dword v16, off, s[68:71], 0 offset:244
	;; [unrolled: 1-line block ×10, first 2 shown]
	s_waitcnt vmcnt(8)
	v_fma_f64 v[15:16], v[163:164], s[16:17], -v[15:16]
	s_waitcnt vmcnt(6)
	v_fma_f64 v[35:36], v[191:192], s[4:5], -v[35:36]
	;; [unrolled: 2-line block ×3, first 2 shown]
	s_waitcnt vmcnt(2)
	v_fma_f64 v[73:74], v[175:176], s[8:9], v[73:74]
	s_waitcnt vmcnt(0)
	v_add_f64 v[7:8], v[7:8], v[63:64]
	s_clause 0x9
	buffer_load_dword v63, off, s[68:71], 0 offset:144
	buffer_load_dword v64, off, s[68:71], 0 offset:148
	;; [unrolled: 1-line block ×10, first 2 shown]
	s_add_u32 s4, s24, s14
	s_addc_u32 s5, s25, s15
	v_add_f64 v[15:16], v[15:16], v[19:20]
	v_mul_f64 v[19:20], v[29:30], v[5:6]
	v_mul_f64 v[5:6], v[23:24], v[5:6]
	v_fma_f64 v[5:6], v[29:30], v[39:40], v[5:6]
	v_add_f64 v[29:30], v[35:36], v[33:34]
	v_add_f64 v[35:36], v[73:74], v[17:18]
	v_fma_f64 v[17:18], v[27:28], v[49:50], -v[85:86]
	v_mul_f64 v[33:34], v[65:66], v[53:54]
	s_waitcnt vmcnt(8)
	v_add_f64 v[2:3], v[2:3], v[63:64]
	s_waitcnt vmcnt(6)
	v_mul_f64 v[63:64], v[79:80], v[239:240]
	s_waitcnt vmcnt(2)
	v_add_f64 v[7:8], v[7:8], v[77:78]
	v_mul_f64 v[77:78], v[0:1], v[45:46]
	v_mul_f64 v[45:46], v[21:22], v[45:46]
	s_waitcnt vmcnt(0)
	v_add_f64 v[81:82], v[2:3], v[81:82]
	s_clause 0x1
	buffer_load_dword v2, off, s[68:71], 0 offset:120
	buffer_load_dword v3, off, s[68:71], 0 offset:124
	v_fma_f64 v[63:64], v[237:238], v[75:76], v[63:64]
	v_mul_f64 v[75:76], v[75:76], v[239:240]
	s_load_dwordx2 s[4:5], s[4:5], 0x0
	v_fma_f64 v[75:76], v[237:238], v[79:80], -v[75:76]
	v_mul_f64 v[79:80], v[25:26], v[11:12]
	v_fma_f64 v[11:12], v[67:68], v[47:48], -v[79:80]
	s_waitcnt vmcnt(0)
	v_add_f64 v[87:88], v[7:8], v[2:3]
	v_fma_f64 v[3:4], v[21:22], v[37:38], -v[77:78]
	v_mul_f64 v[21:22], v[27:28], v[9:10]
	buffer_load_dword v9, off, s[68:71], 0 offset:4 ; 4-byte Folded Reload
	v_fma_f64 v[1:2], v[0:1], v[37:38], v[45:46]
	v_add_f64 v[37:38], v[71:72], v[15:16]
	v_mov_b32_e32 v0, 0x227
	v_fma_f64 v[7:8], v[23:24], v[39:40], -v[19:20]
	v_mul_f64 v[19:20], v[31:32], v[61:62]
	v_mul_f64 v[23:24], v[69:70], v[61:62]
	;; [unrolled: 1-line block ×4, first 2 shown]
	v_fma_f64 v[15:16], v[13:14], v[49:50], v[21:22]
	buffer_load_dword v49, off, s[68:71], 0 ; 4-byte Folded Reload
	v_fma_f64 v[21:22], v[69:70], v[51:52], -v[19:20]
	v_fma_f64 v[19:20], v[31:32], v[51:52], v[23:24]
	v_mul_f64 v[23:24], v[29:30], v[53:54]
	v_mul_f64 v[31:32], v[35:36], v[55:56]
	v_fma_f64 v[27:28], v[81:82], v[75:76], v[27:28]
	v_fma_f64 v[23:24], v[65:66], v[57:58], v[23:24]
	s_waitcnt vmcnt(1)
	v_mul_u32_u24_sdwa v0, v9, v0 dst_sel:DWORD dst_unused:UNUSED_PAD src0_sel:WORD_0 src1_sel:DWORD
	v_fma_f64 v[9:10], v[25:26], v[47:48], v[83:84]
	v_fma_f64 v[25:26], v[29:30], v[57:58], -v[33:34]
	v_fma_f64 v[29:30], v[87:88], v[75:76], -v[39:40]
	v_mul_f64 v[47:48], v[37:38], v[55:56]
	v_lshrrev_b32_e32 v0, 16, v0
	v_mul_lo_u16 v0, 0x121, v0
	v_add_nc_u32_sdwa v61, v255, v0 dst_sel:DWORD dst_unused:UNUSED_PAD src0_sel:DWORD src1_sel:WORD_0
	v_mad_u64_u32 v[45:46], null, s0, v61, 0
	s_waitcnt vmcnt(0)
	v_mad_u64_u32 v[13:14], null, s2, v49, 0
	v_add_nc_u32_e32 v51, 34, v61
	s_waitcnt lgkmcnt(0)
	s_mul_i32 s2, s5, s28
	v_add_nc_u32_e32 v55, 51, v61
	v_mov_b32_e32 v0, v14
	v_mov_b32_e32 v14, v46
	v_mad_u64_u32 v[33:34], null, s3, v49, v[0:1]
	v_mad_u64_u32 v[39:40], null, s1, v61, v[14:15]
	v_add_nc_u32_e32 v34, 17, v61
	v_mad_u64_u32 v[49:50], null, s0, v51, 0
	s_mul_hi_u32 s3, s4, s28
	v_mov_b32_e32 v14, v33
	s_add_i32 s3, s3, s2
	s_mul_i32 s2, s4, s28
	v_mov_b32_e32 v46, v39
	v_mad_u64_u32 v[39:40], null, s0, v34, 0
	s_lshl_b64 s[2:3], s[2:3], 4
	v_lshlrev_b64 v[13:14], 4, v[13:14]
	s_add_u32 s4, s10, s2
	s_addc_u32 s5, s11, s3
	s_lshl_b64 s[2:3], s[26:27], 4
	v_mov_b32_e32 v33, v50
	s_add_u32 s2, s4, s2
	v_mov_b32_e32 v0, v40
	s_addc_u32 s3, s5, s3
	v_add_co_u32 v53, vcc_lo, s2, v13
	v_mad_u64_u32 v[50:51], null, s1, v51, v[33:34]
	v_add_co_ci_u32_e32 v54, vcc_lo, s3, v14, vcc_lo
	v_lshlrev_b64 v[13:14], 4, v[45:46]
	v_mad_u64_u32 v[51:52], null, s0, v55, 0
	v_mad_u64_u32 v[45:46], null, s1, v34, v[0:1]
	v_fma_f64 v[33:34], v[37:38], v[59:60], -v[31:32]
	v_add_co_u32 v13, vcc_lo, v53, v13
	v_add_co_ci_u32_e32 v14, vcc_lo, v54, v14, vcc_lo
	v_mov_b32_e32 v0, v52
	v_mov_b32_e32 v40, v45
	v_fma_f64 v[31:32], v[35:36], v[59:60], v[47:48]
	global_store_dwordx4 v[13:14], v[27:30], off
	v_add_nc_u32_e32 v45, 0x55, v61
	v_mad_u64_u32 v[27:28], null, s1, v55, v[0:1]
	v_lshlrev_b64 v[13:14], 4, v[39:40]
	v_add_nc_u32_e32 v39, 0x44, v61
	v_lshlrev_b64 v[28:29], 4, v[49:50]
	v_mad_u64_u32 v[37:38], null, s0, v45, 0
	v_add_co_u32 v13, vcc_lo, v53, v13
	v_mov_b32_e32 v52, v27
	v_mad_u64_u32 v[35:36], null, s0, v39, 0
	v_add_co_ci_u32_e32 v14, vcc_lo, v54, v14, vcc_lo
	v_add_co_u32 v27, vcc_lo, v53, v28
	v_add_co_ci_u32_e32 v28, vcc_lo, v54, v29, vcc_lo
	v_lshlrev_b64 v[29:30], 4, v[51:52]
	v_mov_b32_e32 v0, v36
	global_store_dwordx4 v[13:14], v[31:34], off
	global_store_dwordx4 v[27:28], v[23:26], off
	v_add_nc_u32_e32 v25, 0x66, v61
	v_add_nc_u32_e32 v26, 0x77, v61
	v_add_co_u32 v13, vcc_lo, v53, v29
	v_add_co_ci_u32_e32 v14, vcc_lo, v54, v30, vcc_lo
	v_mad_u64_u32 v[39:40], null, s1, v39, v[0:1]
	v_mov_b32_e32 v0, v38
	global_store_dwordx4 v[13:14], v[19:22], off
	v_mad_u64_u32 v[13:14], null, s0, v25, 0
	v_mad_u64_u32 v[23:24], null, s1, v45, v[0:1]
	v_mov_b32_e32 v36, v39
	v_mov_b32_e32 v0, v14
	v_lshlrev_b64 v[19:20], 4, v[35:36]
	v_mov_b32_e32 v38, v23
	v_mad_u64_u32 v[23:24], null, s1, v25, v[0:1]
	v_mad_u64_u32 v[24:25], null, s0, v26, 0
	v_lshlrev_b64 v[21:22], 4, v[37:38]
	v_add_co_u32 v19, vcc_lo, v53, v19
	v_add_co_ci_u32_e32 v20, vcc_lo, v54, v20, vcc_lo
	v_mov_b32_e32 v14, v23
	v_add_co_u32 v21, vcc_lo, v53, v21
	v_add_co_ci_u32_e32 v22, vcc_lo, v54, v22, vcc_lo
	v_mov_b32_e32 v0, v25
	global_store_dwordx4 v[19:20], v[15:18], off
	v_add_nc_u32_e32 v16, 0x88, v61
	global_store_dwordx4 v[21:22], v[9:12], off
	v_lshlrev_b64 v[9:10], 4, v[13:14]
	v_mad_u64_u32 v[11:12], null, s1, v26, v[0:1]
	v_mad_u64_u32 v[12:13], null, s0, v16, 0
	v_add_nc_u32_e32 v17, 0x99, v61
	v_add_co_u32 v9, vcc_lo, v53, v9
	v_add_co_ci_u32_e32 v10, vcc_lo, v54, v10, vcc_lo
	v_mov_b32_e32 v25, v11
	v_mov_b32_e32 v0, v13
	v_mad_u64_u32 v[14:15], null, s0, v17, 0
	global_store_dwordx4 v[9:10], v[5:8], off
	v_lshlrev_b64 v[5:6], 4, v[24:25]
	v_mad_u64_u32 v[7:8], null, s1, v16, v[0:1]
	v_add_nc_u32_e32 v18, 0xaa, v61
	v_mov_b32_e32 v0, v15
	v_add_co_u32 v5, vcc_lo, v53, v5
	v_mad_u64_u32 v[8:9], null, s0, v18, 0
	v_add_co_ci_u32_e32 v6, vcc_lo, v54, v6, vcc_lo
	v_mov_b32_e32 v13, v7
	v_mad_u64_u32 v[10:11], null, s1, v17, v[0:1]
	global_store_dwordx4 v[5:6], v[1:4], off
	v_add_nc_u32_e32 v7, 0xbb, v61
	v_lshlrev_b64 v[1:2], 4, v[12:13]
	v_mov_b32_e32 v0, v9
	v_add_nc_u32_e32 v12, 0xee, v61
	v_mad_u64_u32 v[16:17], null, s0, v7, 0
	v_mad_u64_u32 v[3:4], null, s1, v18, v[0:1]
	v_mov_b32_e32 v15, v10
	v_add_co_u32 v1, vcc_lo, v53, v1
	v_add_co_ci_u32_e32 v2, vcc_lo, v54, v2, vcc_lo
	v_mov_b32_e32 v0, v17
	v_mov_b32_e32 v9, v3
	v_lshlrev_b64 v[3:4], 4, v[14:15]
	global_store_dwordx4 v[1:2], v[41:44], off
	v_add_nc_u32_e32 v10, 0xdd, v61
	v_mad_u64_u32 v[5:6], null, s1, v7, v[0:1]
	v_lshlrev_b64 v[0:1], 4, v[8:9]
	v_add_co_u32 v2, vcc_lo, v53, v3
	v_add_co_ci_u32_e32 v3, vcc_lo, v54, v4, vcc_lo
	v_add_nc_u32_e32 v8, 0xcc, v61
	v_add_co_u32 v0, vcc_lo, v53, v0
	v_mov_b32_e32 v17, v5
	v_add_co_ci_u32_e32 v1, vcc_lo, v54, v1, vcc_lo
	global_store_dwordx4 v[2:3], v[165:168], off
	global_store_dwordx4 v[0:1], v[205:208], off
	v_lshlrev_b64 v[6:7], 4, v[16:17]
	s_clause 0x3
	buffer_load_dword v13, off, s[68:71], 0 offset:104
	buffer_load_dword v14, off, s[68:71], 0 offset:108
	;; [unrolled: 1-line block ×4, first 2 shown]
	v_mad_u64_u32 v[4:5], null, s0, v8, 0
	v_add_co_u32 v1, vcc_lo, v53, v6
	v_add_co_ci_u32_e32 v2, vcc_lo, v54, v7, vcc_lo
	v_mov_b32_e32 v0, v5
	v_mad_u64_u32 v[5:6], null, s1, v8, v[0:1]
	v_mad_u64_u32 v[6:7], null, s0, v10, 0
	v_lshlrev_b64 v[3:4], 4, v[4:5]
	v_add_nc_u32_e32 v5, 0x110, v61
	s_waitcnt vmcnt(0)
	global_store_dwordx4 v[1:2], v[13:16], off
	v_add_nc_u32_e32 v13, 0xff, v61
	v_mad_u64_u32 v[0:1], null, s0, v12, 0
	v_mov_b32_e32 v2, v7
	v_mad_u64_u32 v[8:9], null, s0, v13, 0
	v_mad_u64_u32 v[10:11], null, s1, v10, v[2:3]
	;; [unrolled: 1-line block ×3, first 2 shown]
	v_add_co_u32 v3, vcc_lo, v53, v3
	v_mov_b32_e32 v2, v9
	v_mad_u64_u32 v[11:12], null, s0, v5, 0
	v_mov_b32_e32 v7, v10
	v_add_co_ci_u32_e32 v4, vcc_lo, v54, v4, vcc_lo
	v_mad_u64_u32 v[9:10], null, s1, v13, v[2:3]
	s_clause 0x3
	buffer_load_dword v13, off, s[68:71], 0 offset:72
	buffer_load_dword v14, off, s[68:71], 0 offset:76
	;; [unrolled: 1-line block ×4, first 2 shown]
	v_mov_b32_e32 v2, v12
	v_lshlrev_b64 v[0:1], 4, v[0:1]
	s_waitcnt vmcnt(0)
	global_store_dwordx4 v[3:4], v[13:16], off
	v_lshlrev_b64 v[3:4], 4, v[6:7]
	v_mad_u64_u32 v[5:6], null, s1, v5, v[2:3]
	v_add_co_u32 v2, vcc_lo, v53, v3
	v_add_co_ci_u32_e32 v3, vcc_lo, v54, v4, vcc_lo
	v_lshlrev_b64 v[6:7], 4, v[8:9]
	v_add_co_u32 v0, vcc_lo, v53, v0
	v_mov_b32_e32 v12, v5
	v_add_co_ci_u32_e32 v1, vcc_lo, v54, v1, vcc_lo
	v_add_co_u32 v6, vcc_lo, v53, v6
	v_lshlrev_b64 v[4:5], 4, v[11:12]
	s_clause 0x3
	buffer_load_dword v8, off, s[68:71], 0 offset:56
	buffer_load_dword v9, off, s[68:71], 0 offset:60
	;; [unrolled: 1-line block ×4, first 2 shown]
	v_add_co_ci_u32_e32 v7, vcc_lo, v54, v7, vcc_lo
	v_add_co_u32 v4, vcc_lo, v53, v4
	v_add_co_ci_u32_e32 v5, vcc_lo, v54, v5, vcc_lo
	s_waitcnt vmcnt(0)
	global_store_dwordx4 v[2:3], v[8:11], off
	s_clause 0x3
	buffer_load_dword v8, off, s[68:71], 0 offset:40
	buffer_load_dword v9, off, s[68:71], 0 offset:44
	buffer_load_dword v10, off, s[68:71], 0 offset:48
	buffer_load_dword v11, off, s[68:71], 0 offset:52
	s_waitcnt vmcnt(0)
	global_store_dwordx4 v[0:1], v[8:11], off
	s_clause 0x3
	buffer_load_dword v0, off, s[68:71], 0 offset:24
	buffer_load_dword v1, off, s[68:71], 0 offset:28
	buffer_load_dword v2, off, s[68:71], 0 offset:32
	buffer_load_dword v3, off, s[68:71], 0 offset:36
	;; [unrolled: 7-line block ×3, first 2 shown]
	s_waitcnt vmcnt(0)
	global_store_dwordx4 v[4:5], v[0:3], off
.LBB0_14:
	s_endpgm
	.section	.rodata,"a",@progbits
	.p2align	6, 0x0
	.amdhsa_kernel fft_rtc_back_len289_factors_17_17_wgs_119_tpt_17_dp_op_CI_CI_sbcc_twdbase8_3step_dirReg_intrinsicRead
		.amdhsa_group_segment_fixed_size 0
		.amdhsa_private_segment_fixed_size 876
		.amdhsa_kernarg_size 112
		.amdhsa_user_sgpr_count 6
		.amdhsa_user_sgpr_private_segment_buffer 1
		.amdhsa_user_sgpr_dispatch_ptr 0
		.amdhsa_user_sgpr_queue_ptr 0
		.amdhsa_user_sgpr_kernarg_segment_ptr 1
		.amdhsa_user_sgpr_dispatch_id 0
		.amdhsa_user_sgpr_flat_scratch_init 0
		.amdhsa_user_sgpr_private_segment_size 0
		.amdhsa_wavefront_size32 1
		.amdhsa_uses_dynamic_stack 0
		.amdhsa_system_sgpr_private_segment_wavefront_offset 1
		.amdhsa_system_sgpr_workgroup_id_x 1
		.amdhsa_system_sgpr_workgroup_id_y 0
		.amdhsa_system_sgpr_workgroup_id_z 0
		.amdhsa_system_sgpr_workgroup_info 0
		.amdhsa_system_vgpr_workitem_id 0
		.amdhsa_next_free_vgpr 256
		.amdhsa_next_free_sgpr 72
		.amdhsa_reserve_vcc 1
		.amdhsa_reserve_flat_scratch 0
		.amdhsa_float_round_mode_32 0
		.amdhsa_float_round_mode_16_64 0
		.amdhsa_float_denorm_mode_32 3
		.amdhsa_float_denorm_mode_16_64 3
		.amdhsa_dx10_clamp 1
		.amdhsa_ieee_mode 1
		.amdhsa_fp16_overflow 0
		.amdhsa_workgroup_processor_mode 1
		.amdhsa_memory_ordered 1
		.amdhsa_forward_progress 0
		.amdhsa_shared_vgpr_count 0
		.amdhsa_exception_fp_ieee_invalid_op 0
		.amdhsa_exception_fp_denorm_src 0
		.amdhsa_exception_fp_ieee_div_zero 0
		.amdhsa_exception_fp_ieee_overflow 0
		.amdhsa_exception_fp_ieee_underflow 0
		.amdhsa_exception_fp_ieee_inexact 0
		.amdhsa_exception_int_div_zero 0
	.end_amdhsa_kernel
	.text
.Lfunc_end0:
	.size	fft_rtc_back_len289_factors_17_17_wgs_119_tpt_17_dp_op_CI_CI_sbcc_twdbase8_3step_dirReg_intrinsicRead, .Lfunc_end0-fft_rtc_back_len289_factors_17_17_wgs_119_tpt_17_dp_op_CI_CI_sbcc_twdbase8_3step_dirReg_intrinsicRead
                                        ; -- End function
	.section	.AMDGPU.csdata,"",@progbits
; Kernel info:
; codeLenInByte = 23732
; NumSgprs: 74
; NumVgprs: 256
; ScratchSize: 876
; MemoryBound: 0
; FloatMode: 240
; IeeeMode: 1
; LDSByteSize: 0 bytes/workgroup (compile time only)
; SGPRBlocks: 9
; VGPRBlocks: 31
; NumSGPRsForWavesPerEU: 74
; NumVGPRsForWavesPerEU: 256
; Occupancy: 4
; WaveLimiterHint : 1
; COMPUTE_PGM_RSRC2:SCRATCH_EN: 1
; COMPUTE_PGM_RSRC2:USER_SGPR: 6
; COMPUTE_PGM_RSRC2:TRAP_HANDLER: 0
; COMPUTE_PGM_RSRC2:TGID_X_EN: 1
; COMPUTE_PGM_RSRC2:TGID_Y_EN: 0
; COMPUTE_PGM_RSRC2:TGID_Z_EN: 0
; COMPUTE_PGM_RSRC2:TIDIG_COMP_CNT: 0
	.text
	.p2alignl 6, 3214868480
	.fill 48, 4, 3214868480
	.type	__hip_cuid_f3bebc30d52864ef,@object ; @__hip_cuid_f3bebc30d52864ef
	.section	.bss,"aw",@nobits
	.globl	__hip_cuid_f3bebc30d52864ef
__hip_cuid_f3bebc30d52864ef:
	.byte	0                               ; 0x0
	.size	__hip_cuid_f3bebc30d52864ef, 1

	.ident	"AMD clang version 19.0.0git (https://github.com/RadeonOpenCompute/llvm-project roc-6.4.0 25133 c7fe45cf4b819c5991fe208aaa96edf142730f1d)"
	.section	".note.GNU-stack","",@progbits
	.addrsig
	.addrsig_sym __hip_cuid_f3bebc30d52864ef
	.amdgpu_metadata
---
amdhsa.kernels:
  - .args:
      - .actual_access:  read_only
        .address_space:  global
        .offset:         0
        .size:           8
        .value_kind:     global_buffer
      - .address_space:  global
        .offset:         8
        .size:           8
        .value_kind:     global_buffer
      - .offset:         16
        .size:           8
        .value_kind:     by_value
      - .actual_access:  read_only
        .address_space:  global
        .offset:         24
        .size:           8
        .value_kind:     global_buffer
      - .actual_access:  read_only
        .address_space:  global
        .offset:         32
        .size:           8
        .value_kind:     global_buffer
      - .actual_access:  read_only
        .address_space:  global
        .offset:         40
        .size:           8
        .value_kind:     global_buffer
      - .offset:         48
        .size:           8
        .value_kind:     by_value
      - .actual_access:  read_only
        .address_space:  global
        .offset:         56
        .size:           8
        .value_kind:     global_buffer
      - .actual_access:  read_only
        .address_space:  global
        .offset:         64
        .size:           8
        .value_kind:     global_buffer
      - .offset:         72
        .size:           4
        .value_kind:     by_value
      - .actual_access:  read_only
        .address_space:  global
        .offset:         80
        .size:           8
        .value_kind:     global_buffer
      - .actual_access:  read_only
        .address_space:  global
        .offset:         88
        .size:           8
        .value_kind:     global_buffer
      - .address_space:  global
        .offset:         96
        .size:           8
        .value_kind:     global_buffer
      - .actual_access:  write_only
        .address_space:  global
        .offset:         104
        .size:           8
        .value_kind:     global_buffer
    .group_segment_fixed_size: 0
    .kernarg_segment_align: 8
    .kernarg_segment_size: 112
    .language:       OpenCL C
    .language_version:
      - 2
      - 0
    .max_flat_workgroup_size: 119
    .name:           fft_rtc_back_len289_factors_17_17_wgs_119_tpt_17_dp_op_CI_CI_sbcc_twdbase8_3step_dirReg_intrinsicRead
    .private_segment_fixed_size: 876
    .sgpr_count:     74
    .sgpr_spill_count: 0
    .symbol:         fft_rtc_back_len289_factors_17_17_wgs_119_tpt_17_dp_op_CI_CI_sbcc_twdbase8_3step_dirReg_intrinsicRead.kd
    .uniform_work_group_size: 1
    .uses_dynamic_stack: false
    .vgpr_count:     256
    .vgpr_spill_count: 218
    .wavefront_size: 32
    .workgroup_processor_mode: 1
amdhsa.target:   amdgcn-amd-amdhsa--gfx1030
amdhsa.version:
  - 1
  - 2
...

	.end_amdgpu_metadata
